;; amdgpu-corpus repo=ROCm/rocFFT kind=compiled arch=gfx1201 opt=O3
	.text
	.amdgcn_target "amdgcn-amd-amdhsa--gfx1201"
	.amdhsa_code_object_version 6
	.protected	bluestein_single_back_len840_dim1_sp_op_CI_CI ; -- Begin function bluestein_single_back_len840_dim1_sp_op_CI_CI
	.globl	bluestein_single_back_len840_dim1_sp_op_CI_CI
	.p2align	8
	.type	bluestein_single_back_len840_dim1_sp_op_CI_CI,@function
bluestein_single_back_len840_dim1_sp_op_CI_CI: ; @bluestein_single_back_len840_dim1_sp_op_CI_CI
; %bb.0:
	s_load_b128 s[8:11], s[0:1], 0x28
	v_mul_u32_u24_e32 v1, 0x493, v0
	s_mov_b32 s2, exec_lo
	v_mov_b32_e32 v107, 0
	s_delay_alu instid0(VALU_DEP_2) | instskip(NEXT) | instid1(VALU_DEP_1)
	v_lshrrev_b32_e32 v1, 16, v1
	v_add_nc_u32_e32 v106, ttmp9, v1
	s_wait_kmcnt 0x0
	s_delay_alu instid0(VALU_DEP_1)
	v_cmpx_gt_u64_e64 s[8:9], v[106:107]
	s_cbranch_execz .LBB0_39
; %bb.1:
	s_clause 0x1
	s_load_b128 s[4:7], s[0:1], 0x18
	s_load_b64 s[16:17], s[0:1], 0x0
	v_mul_lo_u16 v1, v1, 56
	s_movk_i32 s2, 0xfe94
	s_mov_b32 s3, -1
	s_delay_alu instid0(VALU_DEP_1) | instskip(NEXT) | instid1(VALU_DEP_1)
	v_sub_nc_u16 v37, v0, v1
	v_and_b32_e32 v142, 0xffff, v37
	s_wait_kmcnt 0x0
	s_load_b128 s[12:15], s[4:5], 0x0
	s_wait_kmcnt 0x0
	v_mad_co_u64_u32 v[0:1], null, s14, v106, 0
	v_mad_co_u64_u32 v[2:3], null, s12, v142, 0
	s_mul_u64 s[4:5], s[12:13], 0x1a4
	s_mul_u64 s[2:3], s[12:13], s[2:3]
	s_delay_alu instid0(SALU_CYCLE_1) | instskip(NEXT) | instid1(VALU_DEP_1)
	s_lshl_b64 s[2:3], s[2:3], 3
	v_mad_co_u64_u32 v[4:5], null, s15, v106, v[1:2]
	s_delay_alu instid0(VALU_DEP_1) | instskip(NEXT) | instid1(VALU_DEP_3)
	v_mov_b32_e32 v1, v4
	v_mad_co_u64_u32 v[5:6], null, s13, v142, v[3:4]
	v_lshlrev_b32_e32 v141, 3, v142
	s_delay_alu instid0(VALU_DEP_3)
	v_lshlrev_b64_e32 v[0:1], 3, v[0:1]
	global_load_b64 v[125:126], v141, s[16:17] offset:3360
	v_mov_b32_e32 v3, v5
	s_clause 0x3
	global_load_b64 v[127:128], v141, s[16:17]
	global_load_b64 v[129:130], v141, s[16:17] offset:448
	global_load_b64 v[107:108], v141, s[16:17] offset:896
	;; [unrolled: 1-line block ×3, first 2 shown]
	v_add_co_u32 v0, vcc_lo, s10, v0
	v_add_co_ci_u32_e32 v1, vcc_lo, s11, v1, vcc_lo
	v_lshlrev_b64_e32 v[2:3], 3, v[2:3]
	s_lshl_b64 s[10:11], s[4:5], 3
	s_clause 0x6
	global_load_b64 v[111:112], v141, s[16:17] offset:3808
	global_load_b64 v[109:110], v141, s[16:17] offset:4256
	;; [unrolled: 1-line block ×7, first 2 shown]
	v_add_co_u32 v0, vcc_lo, v0, v2
	s_wait_alu 0xfffd
	v_add_co_ci_u32_e32 v1, vcc_lo, v1, v3, vcc_lo
	s_wait_alu 0xfffe
	s_delay_alu instid0(VALU_DEP_2) | instskip(SKIP_1) | instid1(VALU_DEP_2)
	v_add_co_u32 v2, vcc_lo, v0, s10
	s_wait_alu 0xfffd
	v_add_co_ci_u32_e32 v3, vcc_lo, s11, v1, vcc_lo
	global_load_b64 v[6:7], v[0:1], off
	v_add_co_u32 v4, vcc_lo, v2, s2
	s_wait_alu 0xfffd
	v_add_co_ci_u32_e32 v5, vcc_lo, s3, v3, vcc_lo
	s_delay_alu instid0(VALU_DEP_2) | instskip(SKIP_1) | instid1(VALU_DEP_2)
	v_add_co_u32 v0, vcc_lo, v4, s10
	s_wait_alu 0xfffd
	v_add_co_ci_u32_e32 v1, vcc_lo, s11, v5, vcc_lo
	s_clause 0x2
	global_load_b64 v[2:3], v[2:3], off
	global_load_b64 v[10:11], v[4:5], off
	;; [unrolled: 1-line block ×3, first 2 shown]
	v_add_co_u32 v8, vcc_lo, v0, s2
	s_wait_alu 0xfffd
	v_add_co_ci_u32_e32 v9, vcc_lo, s3, v1, vcc_lo
	s_delay_alu instid0(VALU_DEP_2) | instskip(SKIP_1) | instid1(VALU_DEP_2)
	v_add_co_u32 v0, vcc_lo, v8, s10
	s_wait_alu 0xfffd
	v_add_co_ci_u32_e32 v1, vcc_lo, s11, v9, vcc_lo
	global_load_b64 v[8:9], v[8:9], off
	v_add_co_u32 v4, vcc_lo, v0, s2
	s_wait_alu 0xfffd
	v_add_co_ci_u32_e32 v5, vcc_lo, s3, v1, vcc_lo
	global_load_b64 v[15:16], v[0:1], off
	;; [unrolled: 4-line block ×8, first 2 shown]
	v_add_co_u32 v0, vcc_lo, v4, s10
	s_wait_alu 0xfffd
	v_add_co_ci_u32_e32 v1, vcc_lo, s11, v5, vcc_lo
	global_load_b64 v[131:132], v141, s[16:17] offset:2688
	global_load_b64 v[29:30], v[4:5], off
	global_load_b64 v[133:134], v141, s[16:17] offset:6048
	global_load_b64 v[31:32], v[0:1], off
	s_load_b64 s[8:9], s[0:1], 0x38
	s_load_b128 s[4:7], s[6:7], 0x0
	v_cmp_gt_u16_e32 vcc_lo, 28, v37
	s_wait_loadcnt 0xf
	v_mul_f32_e32 v33, v7, v128
	v_mul_f32_e32 v5, v6, v128
	s_wait_loadcnt 0xe
	s_delay_alu instid0(VALU_DEP_2)
	v_dual_fmac_f32 v33, v6, v127 :: v_dual_mul_f32 v6, v3, v126
	s_wait_loadcnt 0xd
	v_mul_f32_e32 v35, v11, v130
	v_mul_f32_e32 v38, v10, v130
	v_fma_f32 v34, v7, v127, -v5
	v_fmac_f32_e32 v6, v2, v125
	v_dual_mul_f32 v36, v2, v126 :: v_dual_add_nc_u32 v5, 0x400, v141
	s_wait_loadcnt 0xc
	v_mul_f32_e32 v2, v14, v112
	v_fmac_f32_e32 v35, v10, v129
	v_add_nc_u32_e32 v4, 0xc00, v141
	v_fma_f32 v7, v3, v125, -v36
	v_mul_f32_e32 v3, v13, v112
	v_fmac_f32_e32 v2, v13, v111
	v_fma_f32 v36, v11, v129, -v38
	ds_store_b64 v141, v[6:7] offset:3360
	ds_store_2addr_b64 v141, v[33:34], v[35:36] offset1:56
	s_wait_loadcnt 0xa
	v_mul_f32_e32 v6, v16, v110
	v_dual_mul_f32 v10, v9, v108 :: v_dual_mul_f32 v7, v15, v110
	v_fma_f32 v3, v14, v111, -v3
	s_delay_alu instid0(VALU_DEP_3) | instskip(SKIP_1) | instid1(VALU_DEP_3)
	v_dual_mul_f32 v11, v8, v108 :: v_dual_fmac_f32 v6, v15, v109
	s_wait_loadcnt 0x9
	v_dual_mul_f32 v13, v18, v120 :: v_dual_fmac_f32 v10, v8, v107
	v_mul_f32_e32 v14, v17, v120
	v_fma_f32 v7, v16, v109, -v7
	v_fma_f32 v11, v9, v107, -v11
	s_delay_alu instid0(VALU_DEP_4)
	v_fmac_f32_e32 v13, v17, v119
	v_add_co_u32 v104, s12, s16, v141
	ds_store_2addr_b64 v4, v[2:3], v[6:7] offset0:92 offset1:148
	s_wait_loadcnt 0x8
	v_mul_f32_e32 v2, v20, v114
	v_mul_f32_e32 v3, v19, v114
	v_fma_f32 v14, v18, v119, -v14
	s_wait_loadcnt 0x7
	v_mul_f32_e32 v6, v22, v124
	s_wait_loadcnt 0x6
	v_mul_f32_e32 v9, v23, v116
	v_dual_mul_f32 v7, v21, v124 :: v_dual_fmac_f32 v2, v19, v113
	ds_store_2addr_b64 v141, v[10:11], v[13:14] offset0:112 offset1:168
	s_wait_loadcnt 0x5
	v_mul_f32_e32 v11, v25, v122
	v_fmac_f32_e32 v6, v21, v123
	s_wait_alu 0xf1ff
	v_add_co_ci_u32_e64 v105, null, s17, 0, s12
	s_wait_loadcnt 0x4
	v_dual_mul_f32 v13, v28, v118 :: v_dual_add_nc_u32 v12, 0x1000, v141
	v_mul_f32_e32 v8, v24, v116
	s_wait_loadcnt 0x2
	v_dual_mul_f32 v14, v27, v118 :: v_dual_mul_f32 v15, v30, v132
	s_delay_alu instid0(VALU_DEP_3) | instskip(NEXT) | instid1(VALU_DEP_3)
	v_dual_mul_f32 v10, v26, v122 :: v_dual_fmac_f32 v13, v27, v117
	v_fmac_f32_e32 v8, v23, v115
	s_wait_loadcnt 0x0
	v_dual_mul_f32 v16, v29, v132 :: v_dual_mul_f32 v17, v32, v134
	v_mul_f32_e32 v18, v31, v134
	v_fma_f32 v3, v20, v113, -v3
	v_fma_f32 v9, v24, v115, -v9
	;; [unrolled: 1-line block ×4, first 2 shown]
	v_fmac_f32_e32 v15, v29, v131
	v_fmac_f32_e32 v10, v25, v121
	v_fma_f32 v16, v30, v131, -v16
	v_fma_f32 v14, v28, v117, -v14
	v_fmac_f32_e32 v17, v31, v133
	v_fma_f32 v18, v32, v133, -v18
	ds_store_2addr_b64 v12, v[2:3], v[8:9] offset0:76 offset1:132
	ds_store_2addr_b64 v5, v[6:7], v[10:11] offset0:96 offset1:152
	ds_store_b64 v141, v[15:16] offset:2688
	ds_store_2addr_b64 v12, v[13:14], v[17:18] offset0:188 offset1:244
	s_and_saveexec_b32 s12, vcc_lo
	s_cbranch_execz .LBB0_3
; %bb.2:
	v_add_co_u32 v0, s2, v0, s2
	s_wait_alu 0xf1ff
	v_add_co_ci_u32_e64 v1, s2, s3, v1, s2
	s_delay_alu instid0(VALU_DEP_2) | instskip(SKIP_1) | instid1(VALU_DEP_2)
	v_add_co_u32 v2, s2, v0, s10
	s_wait_alu 0xf1ff
	v_add_co_ci_u32_e64 v3, s2, s11, v1, s2
	global_load_b64 v[0:1], v[0:1], off
	s_clause 0x1
	global_load_b64 v[6:7], v[104:105], off offset:3136
	global_load_b64 v[8:9], v[104:105], off offset:6496
	global_load_b64 v[2:3], v[2:3], off
	s_wait_loadcnt 0x2
	v_mul_f32_e32 v10, v1, v7
	v_mul_f32_e32 v11, v0, v7
	s_wait_loadcnt 0x0
	v_mul_f32_e32 v7, v3, v9
	s_delay_alu instid0(VALU_DEP_3) | instskip(NEXT) | instid1(VALU_DEP_3)
	v_dual_mul_f32 v9, v2, v9 :: v_dual_fmac_f32 v10, v0, v6
	v_fma_f32 v11, v1, v6, -v11
	s_delay_alu instid0(VALU_DEP_3) | instskip(NEXT) | instid1(VALU_DEP_3)
	v_fmac_f32_e32 v7, v2, v8
	v_fma_f32 v8, v3, v8, -v9
	ds_store_b64 v141, v[10:11] offset:3136
	ds_store_b64 v141, v[7:8] offset:6496
.LBB0_3:
	s_wait_alu 0xfffe
	s_or_b32 exec_lo, exec_lo, s12
	v_add_nc_u32_e32 v0, 0x800, v141
	global_wb scope:SCOPE_SE
	s_wait_dscnt 0x0
	s_wait_kmcnt 0x0
	s_barrier_signal -1
	s_barrier_wait -1
	global_inv scope:SCOPE_SE
	ds_load_2addr_b64 v[16:19], v141 offset1:56
	ds_load_2addr_b64 v[0:3], v0 offset0:80 offset1:164
	ds_load_2addr_b64 v[24:27], v4 offset0:92 offset1:148
	;; [unrolled: 1-line block ×6, first 2 shown]
                                        ; implicit-def: $vgpr30
                                        ; implicit-def: $vgpr28
	s_and_saveexec_b32 s2, vcc_lo
	s_cbranch_execz .LBB0_5
; %bb.4:
	ds_load_b64 v[28:29], v141 offset:3136
	ds_load_b64 v[30:31], v141 offset:6496
.LBB0_5:
	s_wait_alu 0xfffe
	s_or_b32 exec_lo, exec_lo, s2
	s_load_b64 s[2:3], s[0:1], 0x8
	v_add_co_u32 v32, s0, v142, 56
	s_wait_dscnt 0x5
	v_dual_sub_f32 v38, v16, v2 :: v_dual_sub_f32 v39, v17, v3
	s_wait_dscnt 0x4
	v_dual_sub_f32 v44, v19, v25 :: v_dual_lshlrev_b32 v35, 1, v142
	s_wait_dscnt 0x3
	v_dual_sub_f32 v43, v18, v24 :: v_dual_sub_f32 v26, v8, v26
	v_sub_f32_e32 v27, v9, v27
	s_wait_alu 0xf1ff
	v_add_co_ci_u32_e64 v33, null, 0, 0, s0
	v_add_co_u32 v176, s0, 0x70, v142
	s_wait_alu 0xf1ff
	v_add_co_ci_u32_e64 v33, null, 0, 0, s0
	v_add_co_u32 v34, null, 0xa8, v142
	v_add_co_u32 v33, null, 0xe0, v142
	;; [unrolled: 1-line block ×3, first 2 shown]
	v_fma_f32 v36, v16, 2.0, -v38
	v_fma_f32 v37, v17, 2.0, -v39
	v_fma_f32 v41, v18, 2.0, -v43
	s_wait_dscnt 0x2
	v_sub_f32_e32 v18, v10, v20
	v_fma_f32 v42, v19, 2.0, -v44
	v_fma_f32 v24, v8, 2.0, -v26
	;; [unrolled: 1-line block ×3, first 2 shown]
	s_wait_dscnt 0x1
	v_dual_sub_f32 v19, v11, v21 :: v_dual_sub_f32 v22, v4, v22
	s_wait_dscnt 0x0
	v_dual_sub_f32 v23, v5, v23 :: v_dual_sub_f32 v8, v6, v12
	v_dual_sub_f32 v9, v7, v13 :: v_dual_sub_f32 v12, v0, v14
	;; [unrolled: 1-line block ×3, first 2 shown]
	v_dual_sub_f32 v3, v29, v31 :: v_dual_lshlrev_b32 v146, 4, v142
	v_fma_f32 v16, v10, 2.0, -v18
	v_fma_f32 v17, v11, 2.0, -v19
	;; [unrolled: 1-line block ×6, first 2 shown]
	global_wb scope:SCOPE_SE
	s_wait_kmcnt 0x0
	s_barrier_signal -1
	s_barrier_wait -1
	v_lshlrev_b32_e32 v147, 4, v32
	global_inv scope:SCOPE_SE
	v_lshlrev_b32_e32 v148, 4, v176
	ds_store_b128 v146, v[36:39]
	v_lshlrev_b32_e32 v39, 1, v32
	v_lshlrev_b32_e32 v38, 1, v176
	;; [unrolled: 1-line block ×6, first 2 shown]
	v_add_nc_u32_e32 v164, 0x230, v35
	v_add_nc_u32_e32 v167, 0x2a0, v35
	v_lshlrev_b32_e32 v150, 4, v40
	v_fma_f32 v20, v4, 2.0, -v22
	v_fma_f32 v21, v5, 2.0, -v23
	;; [unrolled: 1-line block ×4, first 2 shown]
	v_lshlrev_b32_e32 v4, 3, v35
	ds_store_b128 v147, v[41:44]
	ds_store_b128 v148, v[24:27]
	;; [unrolled: 1-line block ×4, first 2 shown]
	ds_store_b128 v4, v[6:9] offset:4480
	ds_store_b128 v4, v[10:13] offset:5376
	s_and_saveexec_b32 s0, vcc_lo
	s_cbranch_execz .LBB0_7
; %bb.6:
	ds_store_b128 v150, v[0:3]
.LBB0_7:
	s_wait_alu 0xfffe
	s_or_b32 exec_lo, exec_lo, s0
	v_add_nc_u32_e32 v8, 0x800, v141
	v_add_nc_u32_e32 v12, 0xc00, v141
	;; [unrolled: 1-line block ×4, first 2 shown]
	global_wb scope:SCOPE_SE
	s_wait_dscnt 0x0
	s_barrier_signal -1
	s_barrier_wait -1
	global_inv scope:SCOPE_SE
	ds_load_2addr_b64 v[4:7], v141 offset1:56
	ds_load_2addr_b64 v[8:11], v8 offset0:80 offset1:164
	ds_load_2addr_b64 v[28:31], v12 offset0:92 offset1:148
	;; [unrolled: 1-line block ×6, first 2 shown]
	s_and_saveexec_b32 s0, vcc_lo
	s_cbranch_execz .LBB0_9
; %bb.8:
	ds_load_b64 v[0:1], v141 offset:3136
	ds_load_b64 v[2:3], v141 offset:6496
.LBB0_9:
	s_wait_alu 0xfffe
	s_or_b32 exec_lo, exec_lo, s0
	v_and_b32_e32 v144, 1, v142
	v_lshlrev_b32_e32 v143, 1, v40
	s_delay_alu instid0(VALU_DEP_2)
	v_lshlrev_b32_e32 v41, 3, v144
	global_load_b64 v[135:136], v41, s[2:3]
	v_and_or_b32 v41, 0xfc, v39, v144
	global_wb scope:SCOPE_SE
	s_wait_loadcnt_dscnt 0x0
	s_barrier_signal -1
	s_barrier_wait -1
	global_inv scope:SCOPE_SE
	v_lshlrev_b32_e32 v157, 3, v41
	v_mul_f32_e32 v41, v10, v136
	v_and_or_b32 v42, 0x1fc, v38, v144
	v_and_or_b32 v43, 0x1fc, v36, v144
	;; [unrolled: 1-line block ×5, first 2 shown]
	v_lshlrev_b32_e32 v156, 3, v42
	v_dual_mul_f32 v42, v29, v136 :: v_dual_lshlrev_b32 v155, 3, v43
	v_lshlrev_b32_e32 v153, 3, v45
	v_dual_mul_f32 v45, v30, v136 :: v_dual_lshlrev_b32 v152, 3, v46
	v_mul_f32_e32 v43, v28, v136
	v_mul_f32_e32 v46, v21, v136
	v_and_or_b32 v40, 0x7c, v35, v144
	v_lshlrev_b32_e32 v154, 3, v44
	s_delay_alu instid0(VALU_DEP_4)
	v_dual_mul_f32 v44, v31, v136 :: v_dual_fmac_f32 v43, v29, v135
	v_fmac_f32_e32 v45, v31, v135
	v_fma_f32 v29, v20, v135, -v46
	v_mul_f32_e32 v47, v20, v136
	v_mul_f32_e32 v48, v23, v136
	v_dual_fmac_f32 v41, v11, v135 :: v_dual_lshlrev_b32 v158, 3, v40
	v_mul_f32_e32 v40, v11, v136
	v_fma_f32 v11, v28, v135, -v42
	v_fma_f32 v28, v30, v135, -v44
	;; [unrolled: 1-line block ×3, first 2 shown]
	v_mul_f32_e32 v49, v22, v136
	v_mul_f32_e32 v50, v25, v136
	;; [unrolled: 1-line block ×4, first 2 shown]
	v_fma_f32 v10, v10, v135, -v40
	v_sub_f32_e32 v22, v18, v29
	v_fma_f32 v31, v24, v135, -v50
	v_mul_f32_e32 v51, v24, v136
	v_dual_mul_f32 v52, v27, v136 :: v_dual_fmac_f32 v47, v21, v135
	v_dual_sub_f32 v24, v12, v30 :: v_dual_fmac_f32 v49, v23, v135
	v_sub_f32_e32 v20, v16, v28
	s_delay_alu instid0(VALU_DEP_3)
	v_fma_f32 v40, v26, v135, -v52
	v_fmac_f32_e32 v55, v3, v135
	v_sub_f32_e32 v3, v5, v41
	v_fma_f32 v42, v2, v135, -v54
	v_dual_mul_f32 v53, v26, v136 :: v_dual_sub_f32 v2, v4, v10
	v_sub_f32_e32 v26, v14, v31
	s_delay_alu instid0(VALU_DEP_3) | instskip(NEXT) | instid1(VALU_DEP_3)
	v_dual_fmac_f32 v51, v25, v135 :: v_dual_sub_f32 v30, v0, v42
	v_dual_fmac_f32 v53, v27, v135 :: v_dual_sub_f32 v40, v8, v40
	v_sub_f32_e32 v31, v1, v55
	v_sub_f32_e32 v10, v6, v11
	;; [unrolled: 1-line block ×8, first 2 shown]
	v_fma_f32 v4, v4, 2.0, -v2
	v_fma_f32 v5, v5, 2.0, -v3
	;; [unrolled: 1-line block ×16, first 2 shown]
	ds_store_2addr_b64 v158, v[4:5], v[2:3] offset1:2
	ds_store_2addr_b64 v157, v[6:7], v[10:11] offset1:2
	;; [unrolled: 1-line block ×7, first 2 shown]
	s_and_saveexec_b32 s0, vcc_lo
	s_cbranch_execz .LBB0_11
; %bb.10:
	v_and_or_b32 v0, 0x37c, v143, v144
	s_delay_alu instid0(VALU_DEP_1)
	v_lshlrev_b32_e32 v0, 3, v0
	ds_store_2addr_b64 v0, v[28:29], v[30:31] offset1:2
.LBB0_11:
	s_wait_alu 0xfffe
	s_or_b32 exec_lo, exec_lo, s0
	v_add_nc_u32_e32 v4, 0x800, v141
	v_add_nc_u32_e32 v8, 0xc00, v141
	;; [unrolled: 1-line block ×4, first 2 shown]
	global_wb scope:SCOPE_SE
	s_wait_dscnt 0x0
	s_barrier_signal -1
	s_barrier_wait -1
	global_inv scope:SCOPE_SE
	ds_load_2addr_b64 v[0:3], v141 offset1:56
	ds_load_2addr_b64 v[4:7], v4 offset0:80 offset1:164
	ds_load_2addr_b64 v[24:27], v8 offset0:92 offset1:148
	;; [unrolled: 1-line block ×6, first 2 shown]
	s_and_saveexec_b32 s0, vcc_lo
	s_cbranch_execz .LBB0_13
; %bb.12:
	ds_load_b64 v[28:29], v141 offset:3136
	ds_load_b64 v[30:31], v141 offset:6496
.LBB0_13:
	s_wait_alu 0xfffe
	s_or_b32 exec_lo, exec_lo, s0
	v_and_b32_e32 v145, 3, v142
	s_delay_alu instid0(VALU_DEP_1)
	v_lshlrev_b32_e32 v40, 3, v145
	v_and_or_b32 v36, 0x1f8, v36, v145
	global_load_b64 v[137:138], v40, s[2:3] offset:16
	v_lshlrev_b32_e32 v162, 3, v36
	global_wb scope:SCOPE_SE
	s_wait_loadcnt_dscnt 0x0
	s_barrier_signal -1
	s_barrier_wait -1
	global_inv scope:SCOPE_SE
	v_mul_f32_e32 v36, v6, v138
	v_mul_f32_e32 v48, v22, v138
	;; [unrolled: 1-line block ×4, first 2 shown]
	s_delay_alu instid0(VALU_DEP_4) | instskip(SKIP_1) | instid1(VALU_DEP_4)
	v_fmac_f32_e32 v36, v7, v137
	v_and_or_b32 v35, 0x78, v35, v145
	v_fmac_f32_e32 v42, v17, v137
	v_and_or_b32 v37, 0x3f8, v37, v145
	v_and_or_b32 v40, 0x2f8, v164, v145
	v_and_or_b32 v41, 0x3f8, v167, v145
	v_and_or_b32 v39, 0xf8, v39, v145
	v_and_or_b32 v38, 0x1f8, v38, v145
	v_lshlrev_b32_e32 v166, 3, v35
	v_lshlrev_b32_e32 v161, 3, v37
	;; [unrolled: 1-line block ×4, first 2 shown]
	v_mul_f32_e32 v35, v7, v138
	v_mul_f32_e32 v37, v25, v138
	;; [unrolled: 1-line block ×3, first 2 shown]
	v_dual_mul_f32 v44, v18, v138 :: v_dual_sub_f32 v7, v1, v36
	v_lshlrev_b32_e32 v165, 3, v39
	v_lshlrev_b32_e32 v163, 3, v38
	v_mul_f32_e32 v38, v24, v138
	v_mul_f32_e32 v39, v27, v138
	;; [unrolled: 1-line block ×3, first 2 shown]
	v_dual_mul_f32 v45, v21, v138 :: v_dual_fmac_f32 v40, v27, v137
	v_fma_f32 v6, v6, v137, -v35
	v_fma_f32 v24, v24, v137, -v37
	v_mul_f32_e32 v49, v31, v138
	v_fma_f32 v27, v18, v137, -v43
	v_fmac_f32_e32 v44, v19, v137
	v_mul_f32_e32 v46, v20, v138
	v_mul_f32_e32 v47, v23, v138
	v_fmac_f32_e32 v48, v23, v137
	v_mul_f32_e32 v50, v30, v138
	v_fmac_f32_e32 v38, v25, v137
	v_fma_f32 v25, v26, v137, -v39
	v_fma_f32 v26, v16, v137, -v41
	;; [unrolled: 1-line block ×3, first 2 shown]
	v_sub_f32_e32 v6, v0, v6
	v_sub_f32_e32 v16, v2, v24
	v_fma_f32 v30, v30, v137, -v49
	v_sub_f32_e32 v23, v9, v44
	v_fmac_f32_e32 v46, v21, v137
	v_fma_f32 v37, v22, v137, -v47
	v_dual_sub_f32 v21, v15, v42 :: v_dual_sub_f32 v22, v8, v27
	v_dual_sub_f32 v27, v5, v48 :: v_dual_fmac_f32 v50, v31, v137
	v_dual_sub_f32 v17, v3, v38 :: v_dual_sub_f32 v18, v12, v25
	v_dual_sub_f32 v19, v13, v40 :: v_dual_sub_f32 v20, v14, v26
	v_dual_sub_f32 v24, v10, v35 :: v_dual_sub_f32 v25, v11, v46
	v_sub_f32_e32 v26, v4, v37
	v_sub_f32_e32 v66, v28, v30
	;; [unrolled: 1-line block ×3, first 2 shown]
	v_fma_f32 v0, v0, 2.0, -v6
	v_fma_f32 v1, v1, 2.0, -v7
	;; [unrolled: 1-line block ×14, first 2 shown]
	ds_store_2addr_b64 v166, v[0:1], v[6:7] offset1:4
	ds_store_2addr_b64 v165, v[2:3], v[16:17] offset1:4
	;; [unrolled: 1-line block ×7, first 2 shown]
	s_and_saveexec_b32 s0, vcc_lo
	s_cbranch_execz .LBB0_15
; %bb.14:
	v_and_or_b32 v2, 0x378, v143, v145
	v_fma_f32 v1, v29, 2.0, -v67
	v_fma_f32 v0, v28, 2.0, -v66
	s_delay_alu instid0(VALU_DEP_3)
	v_lshlrev_b32_e32 v2, 3, v2
	ds_store_2addr_b64 v2, v[0:1], v[66:67] offset1:4
.LBB0_15:
	s_wait_alu 0xfffe
	s_or_b32 exec_lo, exec_lo, s0
	v_and_b32_e32 v31, 7, v142
	global_wb scope:SCOPE_SE
	s_wait_dscnt 0x0
	s_barrier_signal -1
	s_barrier_wait -1
	global_inv scope:SCOPE_SE
	v_lshlrev_b32_e32 v0, 4, v31
	ds_load_2addr_b64 v[7:10], v141 offset1:56
	v_lshrrev_b32_e32 v42, 3, v34
	v_lshrrev_b32_e32 v43, 3, v33
	;; [unrolled: 1-line block ×3, first 2 shown]
	global_load_b128 v[0:3], v0, s[2:3] offset:48
	v_add_nc_u32_e32 v6, 0x400, v141
	v_add_nc_u32_e32 v4, 0x1000, v141
	;; [unrolled: 1-line block ×3, first 2 shown]
	ds_load_2addr_b64 v[11:14], v141 offset0:112 offset1:168
	ds_load_b64 v[37:38], v141 offset:6272
	ds_load_2addr_b64 v[15:18], v6 offset0:96 offset1:152
	ds_load_2addr_b64 v[19:22], v4 offset0:48 offset1:104
	;; [unrolled: 1-line block ×5, first 2 shown]
	v_and_b32_e32 v44, 0xff, v142
	v_and_b32_e32 v45, 0xff, v32
	v_lshrrev_b32_e32 v40, 3, v32
	v_lshrrev_b32_e32 v41, 3, v176
	v_and_b32_e32 v46, 0xff, v176
	v_mul_lo_u16 v44, 0xab, v44
	v_mul_lo_u16 v45, 0xab, v45
	v_mul_u32_u24_e32 v39, 24, v39
	v_mul_u32_u24_e32 v40, 24, v40
	;; [unrolled: 1-line block ×5, first 2 shown]
	v_lshrrev_b16 v44, 12, v44
	v_lshrrev_b16 v45, 12, v45
	v_or_b32_e32 v39, v39, v31
	v_or_b32_e32 v40, v40, v31
	;; [unrolled: 1-line block ×3, first 2 shown]
	v_mul_lo_u16 v47, v44, 24
	v_or_b32_e32 v42, v42, v31
	v_or_b32_e32 v31, v43, v31
	v_lshlrev_b32_e32 v175, 3, v39
	v_lshlrev_b32_e32 v174, 3, v40
	v_sub_nc_u16 v47, v142, v47
	v_lshlrev_b32_e32 v171, 3, v42
	v_lshlrev_b32_e32 v169, 3, v31
	;; [unrolled: 1-line block ×3, first 2 shown]
	global_wb scope:SCOPE_SE
	s_wait_loadcnt_dscnt 0x0
	v_and_b32_e32 v52, 0xff, v47
	s_barrier_signal -1
	s_barrier_wait -1
	global_inv scope:SCOPE_SE
	v_cmp_gt_u16_e64 s0, 8, v142
	v_mul_f32_e32 v57, v33, v1
	v_mul_f32_e32 v51, v25, v1
	v_mul_lo_u16 v46, 0xab, v46
	v_mul_f32_e32 v31, v18, v1
	v_mul_f32_e32 v39, v20, v3
	;; [unrolled: 1-line block ×4, first 2 shown]
	v_lshrrev_b16 v43, 12, v46
	v_mul_lo_u16 v46, v45, 24
	v_mul_f32_e32 v48, v22, v3
	v_mul_f32_e32 v49, v21, v3
	;; [unrolled: 1-line block ×3, first 2 shown]
	v_dual_mul_f32 v58, v30, v3 :: v_dual_lshlrev_b32 v41, 5, v52
	v_sub_nc_u16 v32, v32, v46
	v_mul_f32_e32 v46, v24, v1
	v_mul_f32_e32 v50, v26, v1
	;; [unrolled: 1-line block ×3, first 2 shown]
	s_delay_alu instid0(VALU_DEP_4)
	v_dual_mul_f32 v56, v34, v1 :: v_dual_and_b32 v53, 0xff, v32
	v_mul_f32_e32 v32, v17, v1
	v_dual_mul_f32 v59, v29, v3 :: v_dual_mul_f32 v60, v36, v1
	v_mul_f32_e32 v63, v37, v3
	v_dual_mul_f32 v61, v35, v1 :: v_dual_mul_f32 v62, v38, v3
	v_fma_f32 v17, v17, v0, -v31
	v_dual_fmac_f32 v32, v18, v0 :: v_dual_fmac_f32 v55, v28, v2
	v_fma_f32 v18, v19, v2, -v39
	v_dual_fmac_f32 v42, v20, v2 :: v_dual_fmac_f32 v51, v26, v0
	v_fma_f32 v19, v23, v0, -v46
	s_delay_alu instid0(VALU_DEP_3)
	v_dual_fmac_f32 v47, v24, v0 :: v_dual_add_f32 v28, v17, v18
	v_fma_f32 v20, v21, v2, -v48
	v_fmac_f32_e32 v49, v22, v2
	v_fma_f32 v21, v25, v0, -v50
	v_fma_f32 v22, v27, v2, -v54
	;; [unrolled: 1-line block ×3, first 2 shown]
	v_fmac_f32_e32 v57, v34, v0
	v_fma_f32 v24, v29, v2, -v58
	v_dual_fmac_f32 v59, v30, v2 :: v_dual_add_f32 v34, v19, v20
	v_fma_f32 v25, v35, v0, -v60
	v_dual_fmac_f32 v61, v36, v0 :: v_dual_add_f32 v36, v10, v47
	v_fma_f32 v26, v37, v2, -v62
	v_dual_fmac_f32 v63, v38, v2 :: v_dual_sub_f32 v38, v19, v20
	v_dual_add_f32 v31, v32, v42 :: v_dual_add_f32 v54, v13, v23
	v_dual_add_f32 v27, v7, v17 :: v_dual_add_f32 v46, v21, v22
	v_dual_sub_f32 v29, v32, v42 :: v_dual_add_f32 v50, v51, v55
	v_add_f32_e32 v30, v8, v32
	v_dual_sub_f32 v32, v17, v18 :: v_dual_add_f32 v37, v47, v49
	v_sub_f32_e32 v58, v57, v59
	v_dual_add_f32 v33, v9, v19 :: v_dual_add_f32 v56, v23, v24
	v_dual_sub_f32 v35, v47, v49 :: v_dual_add_f32 v48, v12, v51
	v_dual_add_f32 v39, v11, v21 :: v_dual_sub_f32 v68, v61, v63
	v_dual_sub_f32 v47, v51, v55 :: v_dual_add_f32 v60, v14, v57
	v_dual_add_f32 v57, v57, v59 :: v_dual_add_f32 v64, v15, v25
	v_add_f32_e32 v65, v25, v26
	v_dual_add_f32 v69, v16, v61 :: v_dual_sub_f32 v70, v25, v26
	v_add_f32_e32 v61, v61, v63
	v_fma_f32 v7, -0.5, v28, v7
	v_fma_f32 v8, -0.5, v31, v8
	v_dual_add_f32 v17, v27, v18 :: v_dual_fmac_f32 v10, -0.5, v37
	v_fma_f32 v9, -0.5, v34, v9
	v_dual_sub_f32 v51, v21, v22 :: v_dual_sub_f32 v62, v23, v24
	v_dual_add_f32 v18, v30, v42 :: v_dual_add_f32 v19, v33, v20
	v_add_f32_e32 v20, v36, v49
	v_fma_f32 v11, -0.5, v46, v11
	v_fma_f32 v12, -0.5, v50, v12
	v_dual_add_f32 v23, v54, v24 :: v_dual_fmac_f32 v14, -0.5, v57
	v_fma_f32 v13, -0.5, v56, v13
	v_fma_f32 v15, -0.5, v65, v15
	v_dual_fmac_f32 v16, -0.5, v61 :: v_dual_fmamk_f32 v27, v29, 0x3f5db3d7, v7
	v_dual_fmac_f32 v7, 0xbf5db3d7, v29 :: v_dual_fmamk_f32 v28, v32, 0xbf5db3d7, v8
	v_dual_fmac_f32 v8, 0x3f5db3d7, v32 :: v_dual_fmamk_f32 v29, v35, 0x3f5db3d7, v9
	;; [unrolled: 1-line block ×4, first 2 shown]
	v_dual_add_f32 v21, v39, v22 :: v_dual_add_f32 v24, v60, v59
	v_add_f32_e32 v22, v48, v55
	v_dual_fmac_f32 v11, 0xbf5db3d7, v47 :: v_dual_fmamk_f32 v32, v51, 0xbf5db3d7, v12
	v_dual_fmac_f32 v12, 0x3f5db3d7, v51 :: v_dual_fmamk_f32 v33, v58, 0x3f5db3d7, v13
	;; [unrolled: 1-line block ×5, first 2 shown]
	v_dual_add_f32 v25, v64, v26 :: v_dual_add_f32 v26, v69, v63
	v_fmac_f32_e32 v16, 0x3f5db3d7, v70
	ds_store_2addr_b64 v175, v[17:18], v[27:28] offset1:8
	ds_store_b64 v175, v[7:8] offset:128
	ds_store_2addr_b64 v174, v[19:20], v[29:30] offset1:8
	ds_store_b64 v174, v[9:10] offset:128
	;; [unrolled: 2-line block ×5, first 2 shown]
	global_wb scope:SCOPE_SE
	s_wait_dscnt 0x0
	s_barrier_signal -1
	s_barrier_wait -1
	global_inv scope:SCOPE_SE
	global_load_b128 v[36:39], v41, s[2:3] offset:176
	v_lshlrev_b32_e32 v8, 5, v53
	v_mul_lo_u16 v40, v43, 24
	global_load_b128 v[32:35], v41, s[2:3] offset:192
	v_and_b32_e32 v48, 0xffff, v43
	global_load_b128 v[28:31], v8, s[2:3] offset:176
	v_sub_nc_u16 v7, v176, v40
	v_mul_u32_u24_e32 v56, 0x78, v48
	s_delay_alu instid0(VALU_DEP_2) | instskip(NEXT) | instid1(VALU_DEP_1)
	v_and_b32_e32 v15, 0xff, v7
	v_lshlrev_b32_e32 v7, 5, v15
	s_clause 0x2
	global_load_b128 v[24:27], v8, s[2:3] offset:192
	global_load_b128 v[20:23], v7, s[2:3] offset:176
	global_load_b128 v[16:19], v7, s[2:3] offset:192
	ds_load_2addr_b64 v[7:10], v141 offset0:112 offset1:168
	ds_load_2addr_b64 v[11:14], v5 offset0:80 offset1:136
	v_and_b32_e32 v40, 0xffff, v44
	v_and_b32_e32 v44, 0xffff, v45
	ds_load_2addr_b64 v[48:51], v6 offset0:96 offset1:152
	s_wait_loadcnt_dscnt 0x501
	v_dual_mul_f32 v68, v11, v39 :: v_dual_add_nc_u32 v63, 0x1400, v141
	v_mul_f32_e32 v64, v9, v37
	v_add_lshl_u32 v168, v56, v15, 3
	v_mul_f32_e32 v15, v10, v37
	v_mul_u32_u24_e32 v54, 0x78, v40
	ds_load_2addr_b64 v[40:43], v5 offset0:192 offset1:248
	s_wait_loadcnt 0x3
	v_mul_f32_e32 v75, v14, v31
	v_mul_u32_u24_e32 v55, 0x78, v44
	ds_load_2addr_b64 v[44:47], v4 offset0:160 offset1:216
	v_add_lshl_u32 v173, v54, v52, 3
	v_dual_mul_f32 v65, v12, v39 :: v_dual_add_nc_u32 v62, 0xc00, v141
	v_add_lshl_u32 v170, v55, v53, 3
	ds_load_2addr_b64 v[52:55], v4 offset0:48 offset1:104
	ds_load_2addr_b64 v[56:59], v141 offset1:56
	ds_load_b64 v[60:61], v141 offset:6272
	s_wait_dscnt 0x5
	v_mul_f32_e32 v73, v49, v29
	v_fma_f32 v9, v9, v36, -v15
	v_mul_f32_e32 v74, v48, v29
	v_mul_f32_e32 v76, v13, v31
	v_fma_f32 v13, v13, v30, -v75
	s_wait_loadcnt 0x1
	v_mul_f32_e32 v81, v51, v21
	global_wb scope:SCOPE_SE
	s_wait_loadcnt_dscnt 0x0
	s_barrier_signal -1
	s_barrier_wait -1
	global_inv scope:SCOPE_SE
	v_mul_f32_e32 v69, v43, v33
	v_mul_f32_e32 v70, v42, v33
	;; [unrolled: 1-line block ×6, first 2 shown]
	v_fma_f32 v15, v42, v32, -v69
	v_mul_f32_e32 v79, v47, v27
	v_mul_f32_e32 v77, v53, v25
	v_fma_f32 v69, v44, v34, -v71
	v_mul_f32_e32 v86, v54, v17
	v_mul_f32_e32 v88, v60, v19
	v_fmac_f32_e32 v64, v10, v36
	v_fma_f32 v10, v11, v38, -v65
	v_dual_mul_f32 v78, v52, v25 :: v_dual_mul_f32 v87, v61, v19
	v_mul_f32_e32 v83, v41, v23
	v_dual_mul_f32 v85, v55, v17 :: v_dual_fmac_f32 v68, v12, v38
	v_fmac_f32_e32 v70, v43, v32
	v_fmac_f32_e32 v72, v45, v34
	v_fma_f32 v11, v48, v28, -v73
	v_dual_sub_f32 v43, v69, v15 :: v_dual_fmac_f32 v86, v55, v16
	v_add_f32_e32 v45, v9, v69
	v_sub_f32_e32 v55, v9, v69
	s_delay_alu instid0(VALU_DEP_4)
	v_sub_f32_e32 v89, v13, v11
	v_dual_fmac_f32 v88, v61, v18 :: v_dual_sub_f32 v61, v10, v15
	v_dual_sub_f32 v73, v70, v72 :: v_dual_fmac_f32 v84, v41, v22
	v_dual_add_f32 v41, v10, v15 :: v_dual_fmac_f32 v80, v47, v26
	v_sub_f32_e32 v47, v15, v69
	v_mul_f32_e32 v82, v50, v21
	v_dual_fmac_f32 v74, v49, v28 :: v_dual_add_f32 v75, v58, v11
	v_dual_fmac_f32 v76, v14, v30 :: v_dual_add_f32 v49, v57, v64
	v_fma_f32 v44, v52, v24, -v77
	v_fmac_f32_e32 v78, v53, v24
	v_fma_f32 v71, v46, v26, -v79
	v_fma_f32 v12, v50, v20, -v81
	;; [unrolled: 1-line block ×3, first 2 shown]
	v_sub_f32_e32 v83, v11, v13
	v_fma_f32 v48, v54, v16, -v85
	v_fma_f32 v60, v60, v18, -v87
	v_dual_add_f32 v14, v56, v9 :: v_dual_add_f32 v77, v13, v44
	v_sub_f32_e32 v53, v64, v72
	v_dual_fmac_f32 v82, v51, v20 :: v_dual_sub_f32 v81, v76, v78
	v_dual_add_f32 v50, v68, v70 :: v_dual_sub_f32 v93, v11, v71
	v_sub_f32_e32 v51, v64, v68
	v_add_f32_e32 v65, v64, v72
	v_dual_sub_f32 v64, v68, v64 :: v_dual_add_f32 v91, v59, v74
	v_dual_sub_f32 v90, v44, v71 :: v_dual_add_f32 v97, v74, v80
	v_dual_add_f32 v92, v76, v78 :: v_dual_add_f32 v99, v7, v12
	v_dual_sub_f32 v46, v10, v9 :: v_dual_add_f32 v87, v11, v71
	v_dual_sub_f32 v42, v9, v10 :: v_dual_sub_f32 v85, v71, v44
	v_dual_sub_f32 v52, v72, v70 :: v_dual_sub_f32 v95, v74, v76
	v_dual_sub_f32 v94, v13, v44 :: v_dual_add_f32 v179, v8, v82
	v_dual_add_f32 v100, v40, v48 :: v_dual_add_f32 v187, v14, v10
	v_dual_sub_f32 v102, v84, v86 :: v_dual_add_f32 v185, v82, v88
	v_dual_add_f32 v140, v12, v60 :: v_dual_add_f32 v189, v46, v47
	v_add_f32_e32 v180, v84, v86
	v_fma_f32 v9, -0.5, v41, v56
	v_add_f32_e32 v41, v49, v68
	v_fma_f32 v10, -0.5, v50, v57
	v_dual_sub_f32 v54, v68, v70 :: v_dual_sub_f32 v79, v74, v80
	v_dual_sub_f32 v96, v80, v78 :: v_dual_sub_f32 v101, v82, v88
	;; [unrolled: 1-line block ×3, first 2 shown]
	v_dual_sub_f32 v98, v78, v80 :: v_dual_add_f32 v73, v64, v73
	v_dual_sub_f32 v103, v12, v40 :: v_dual_add_f32 v188, v42, v43
	s_delay_alu instid0(VALU_DEP_2)
	v_dual_sub_f32 v139, v60, v48 :: v_dual_add_f32 v74, v74, v98
	v_sub_f32_e32 v177, v40, v12
	v_sub_f32_e32 v178, v48, v60
	v_dual_sub_f32 v184, v88, v86 :: v_dual_add_f32 v47, v91, v76
	v_sub_f32_e32 v82, v84, v82
	v_sub_f32_e32 v186, v86, v88
	v_fma_f32 v11, -0.5, v45, v56
	v_add_f32_e32 v45, v75, v13
	v_fma_f32 v13, -0.5, v77, v58
	v_add_f32_e32 v77, v89, v90
	v_fma_f32 v14, -0.5, v92, v59
	v_fmac_f32_e32 v59, -0.5, v97
	v_dual_sub_f32 v181, v12, v60 :: v_dual_add_f32 v82, v82, v186
	v_fma_f32 v12, -0.5, v65, v57
	v_fma_f32 v58, -0.5, v87, v58
	v_dual_sub_f32 v182, v40, v48 :: v_dual_add_f32 v75, v83, v85
	v_dual_add_f32 v49, v99, v40 :: v_dual_fmamk_f32 v40, v53, 0x3f737871, v9
	v_fma_f32 v64, -0.5, v100, v7
	v_fma_f32 v7, -0.5, v140, v7
	;; [unrolled: 1-line block ×3, first 2 shown]
	v_fmac_f32_e32 v8, -0.5, v185
	v_dual_add_f32 v68, v51, v52 :: v_dual_add_f32 v85, v177, v178
	v_dual_add_f32 v51, v179, v84 :: v_dual_add_f32 v56, v41, v70
	v_fmamk_f32 v41, v55, 0xbf737871, v10
	v_dual_add_f32 v76, v95, v96 :: v_dual_fmac_f32 v9, 0xbf737871, v53
	v_dual_add_f32 v83, v103, v139 :: v_dual_fmamk_f32 v42, v54, 0xbf737871, v11
	v_dual_add_f32 v84, v183, v184 :: v_dual_fmac_f32 v11, 0x3f737871, v54
	v_add_f32_e32 v15, v187, v15
	v_dual_fmac_f32 v10, 0x3f737871, v55 :: v_dual_add_f32 v57, v45, v44
	v_dual_fmamk_f32 v43, v61, 0x3f737871, v12 :: v_dual_fmamk_f32 v44, v79, 0x3f737871, v13
	v_fmac_f32_e32 v12, 0xbf737871, v61
	v_dual_add_f32 v70, v47, v78 :: v_dual_fmamk_f32 v45, v93, 0xbf737871, v14
	v_dual_fmac_f32 v13, 0xbf737871, v79 :: v_dual_fmamk_f32 v46, v81, 0xbf737871, v58
	v_dual_fmac_f32 v58, 0x3f737871, v81 :: v_dual_fmamk_f32 v47, v94, 0x3f737871, v59
	v_fmac_f32_e32 v14, 0x3f737871, v93
	v_dual_fmac_f32 v59, 0xbf737871, v94 :: v_dual_add_f32 v78, v49, v48
	v_fmamk_f32 v48, v101, 0x3f737871, v64
	v_fmac_f32_e32 v64, 0xbf737871, v101
	v_fmamk_f32 v50, v102, 0xbf737871, v7
	v_fmac_f32_e32 v7, 0x3f737871, v102
	v_dual_add_f32 v86, v51, v86 :: v_dual_fmamk_f32 v49, v181, 0xbf737871, v65
	v_fmac_f32_e32 v65, 0x3f737871, v181
	v_dual_fmamk_f32 v51, v182, 0x3f737871, v8 :: v_dual_add_f32 v52, v15, v69
	v_fmac_f32_e32 v8, 0xbf737871, v182
	v_dual_fmac_f32 v40, 0x3f167918, v54 :: v_dual_fmac_f32 v59, 0x3f167918, v93
	v_fmac_f32_e32 v41, 0xbf167918, v61
	v_dual_fmac_f32 v9, 0xbf167918, v54 :: v_dual_add_f32 v54, v57, v71
	v_dual_fmac_f32 v42, 0x3f167918, v53 :: v_dual_add_f32 v57, v86, v88
	v_dual_fmac_f32 v11, 0xbf167918, v53 :: v_dual_fmac_f32 v58, 0xbf167918, v79
	v_dual_fmac_f32 v10, 0x3f167918, v61 :: v_dual_fmac_f32 v65, 0x3f167918, v182
	;; [unrolled: 1-line block ×3, first 2 shown]
	v_fmac_f32_e32 v12, 0x3f167918, v55
	v_fmac_f32_e32 v44, 0x3f167918, v81
	;; [unrolled: 1-line block ×7, first 2 shown]
	v_add_f32_e32 v53, v56, v72
	v_add_f32_e32 v55, v70, v80
	;; [unrolled: 1-line block ×3, first 2 shown]
	v_fmac_f32_e32 v48, 0x3f167918, v102
	v_fmac_f32_e32 v50, 0x3f167918, v101
	v_fmac_f32_e32 v7, 0xbf167918, v101
	v_fmac_f32_e32 v49, 0xbf167918, v182
	v_fmac_f32_e32 v51, 0xbf167918, v181
	v_fmac_f32_e32 v8, 0x3f167918, v181
	v_dual_fmac_f32 v40, 0x3e9e377a, v188 :: v_dual_fmac_f32 v11, 0x3e9e377a, v189
	v_dual_fmac_f32 v41, 0x3e9e377a, v68 :: v_dual_fmac_f32 v12, 0x3e9e377a, v73
	;; [unrolled: 1-line block ×11, first 2 shown]
	v_fmac_f32_e32 v51, 0x3e9e377a, v82
	v_fmac_f32_e32 v8, 0x3e9e377a, v82
	ds_store_2addr_b64 v173, v[52:53], v[40:41] offset1:24
	ds_store_2addr_b64 v173, v[42:43], v[11:12] offset0:48 offset1:72
	ds_store_b64 v173, v[9:10] offset:768
	ds_store_2addr_b64 v170, v[54:55], v[44:45] offset1:24
	ds_store_2addr_b64 v170, v[46:47], v[58:59] offset0:48 offset1:72
	ds_store_b64 v170, v[13:14] offset:768
	;; [unrolled: 3-line block ×3, first 2 shown]
	global_wb scope:SCOPE_SE
	s_wait_dscnt 0x0
	s_barrier_signal -1
	s_barrier_wait -1
	global_inv scope:SCOPE_SE
	ds_load_2addr_b64 v[68:71], v141 offset1:56
	ds_load_2addr_b64 v[100:103], v141 offset0:120 offset1:176
	ds_load_2addr_b64 v[96:99], v6 offset0:112 offset1:168
	;; [unrolled: 1-line block ×6, first 2 shown]
                                        ; implicit-def: $vgpr74
                                        ; implicit-def: $vgpr78
                                        ; implicit-def: $vgpr139
	s_and_saveexec_b32 s1, s0
	s_cbranch_execz .LBB0_17
; %bb.16:
	ds_load_2addr_b64 v[64:67], v141 offset0:112 offset1:232
	ds_load_2addr_b64 v[72:75], v5 offset0:96 offset1:216
	;; [unrolled: 1-line block ×3, first 2 shown]
	ds_load_b64 v[139:140], v141 offset:6656
.LBB0_17:
	s_wait_alu 0xfffe
	s_or_b32 exec_lo, exec_lo, s1
	v_mad_co_u64_u32 v[4:5], null, v142, 48, s[2:3]
	s_clause 0x5
	global_load_b128 v[60:63], v[4:5], off offset:944
	global_load_b128 v[52:55], v[4:5], off offset:960
	;; [unrolled: 1-line block ×6, first 2 shown]
	s_wait_loadcnt_dscnt 0x505
	v_dual_mul_f32 v177, v100, v61 :: v_dual_add_nc_u32 v4, -8, v142
	s_delay_alu instid0(VALU_DEP_1)
	v_cndmask_b32_e64 v4, v4, v176, s0
	s_wait_dscnt 0x4
	v_dual_mul_f32 v176, v101, v61 :: v_dual_mul_f32 v179, v96, v63
	s_wait_loadcnt_dscnt 0x200
	v_dual_mul_f32 v186, v81, v43 :: v_dual_mul_f32 v189, v102, v57
	v_mul_i32_i24_e32 v5, 48, v4
	v_mul_hi_i32_i24_e32 v4, 48, v4
	v_dual_mul_f32 v178, v97, v63 :: v_dual_mul_f32 v181, v92, v53
	v_dual_mul_f32 v180, v93, v53 :: v_dual_mul_f32 v183, v88, v55
	s_delay_alu instid0(VALU_DEP_4)
	v_add_co_u32 v12, s1, s2, v5
	s_wait_alu 0xf1ff
	v_add_co_ci_u32_e64 v13, s1, s3, v4, s1
	v_dual_mul_f32 v182, v89, v55 :: v_dual_mul_f32 v185, v84, v41
	s_clause 0x2
	global_load_b128 v[8:11], v[12:13], off offset:944
	global_load_b128 v[4:7], v[12:13], off offset:960
	;; [unrolled: 1-line block ×3, first 2 shown]
	v_dual_mul_f32 v184, v85, v41 :: v_dual_mul_f32 v187, v80, v43
	v_dual_mul_f32 v188, v103, v57 :: v_dual_mul_f32 v191, v98, v59
	s_wait_loadcnt 0x4
	v_dual_mul_f32 v190, v99, v59 :: v_dual_mul_f32 v193, v94, v49
	v_dual_mul_f32 v192, v95, v49 :: v_dual_mul_f32 v195, v90, v51
	s_wait_loadcnt 0x3
	v_dual_mul_f32 v194, v91, v51 :: v_dual_mul_f32 v197, v86, v45
	v_dual_mul_f32 v196, v87, v45 :: v_dual_mul_f32 v199, v82, v47
	v_dual_mul_f32 v198, v83, v47 :: v_dual_fmac_f32 v177, v101, v60
	v_fma_f32 v100, v100, v60, -v176
	v_fma_f32 v80, v80, v42, -v186
	;; [unrolled: 1-line block ×3, first 2 shown]
	v_fmac_f32_e32 v179, v97, v62
	v_fma_f32 v92, v92, v52, -v180
	v_fma_f32 v88, v88, v54, -v182
	;; [unrolled: 1-line block ×3, first 2 shown]
	v_fmac_f32_e32 v183, v89, v54
	v_fmac_f32_e32 v185, v85, v40
	;; [unrolled: 1-line block ×3, first 2 shown]
	v_fma_f32 v81, v102, v56, -v188
	v_fma_f32 v85, v98, v58, -v190
	v_fmac_f32_e32 v191, v99, v58
	v_fma_f32 v89, v94, v48, -v192
	v_fma_f32 v90, v90, v50, -v194
	;; [unrolled: 1-line block ×3, first 2 shown]
	v_fmac_f32_e32 v197, v87, v44
	v_fma_f32 v82, v82, v46, -v198
	v_fmac_f32_e32 v189, v103, v56
	v_fmac_f32_e32 v199, v83, v46
	v_add_f32_e32 v83, v100, v80
	v_sub_f32_e32 v80, v100, v80
	v_dual_fmac_f32 v181, v93, v52 :: v_dual_add_f32 v94, v179, v185
	v_fmac_f32_e32 v195, v91, v50
	v_dual_add_f32 v93, v96, v84 :: v_dual_add_f32 v102, v89, v90
	v_sub_f32_e32 v84, v96, v84
	s_delay_alu instid0(VALU_DEP_4)
	v_dual_add_f32 v96, v92, v88 :: v_dual_add_f32 v97, v181, v183
	v_sub_f32_e32 v88, v88, v92
	v_add_f32_e32 v98, v81, v82
	v_sub_f32_e32 v81, v81, v82
	v_add_f32_e32 v100, v85, v86
	v_dual_sub_f32 v91, v177, v187 :: v_dual_sub_f32 v92, v183, v181
	v_dual_sub_f32 v85, v85, v86 :: v_dual_sub_f32 v194, v88, v84
	v_sub_f32_e32 v86, v191, v197
	v_dual_add_f32 v101, v191, v197 :: v_dual_add_f32 v188, v93, v83
	v_dual_sub_f32 v89, v90, v89 :: v_dual_sub_f32 v190, v93, v83
	v_add_f32_e32 v192, v88, v84
	v_sub_f32_e32 v84, v84, v80
	v_add_f32_e32 v196, v100, v98
	v_sub_f32_e32 v198, v100, v98
	v_sub_f32_e32 v98, v98, v102
	;; [unrolled: 1-line block ×3, first 2 shown]
	v_add_f32_e32 v200, v89, v85
	v_sub_f32_e32 v202, v89, v85
	v_dual_sub_f32 v88, v80, v88 :: v_dual_sub_f32 v89, v81, v89
	v_add_f32_e32 v102, v102, v196
	v_mul_f32_e32 v98, 0x3f4a47b2, v98
	s_wait_loadcnt 0x2
	v_mul_f32_e32 v178, v73, v11
	s_wait_loadcnt 0x1
	v_dual_mul_f32 v182, v77, v7 :: v_dual_fmac_f32 v193, v95, v48
	v_sub_f32_e32 v82, v189, v199
	v_add_f32_e32 v87, v177, v187
	s_wait_loadcnt 0x0
	v_dual_sub_f32 v95, v179, v185 :: v_dual_mul_f32 v186, v140, v15
	v_dual_add_f32 v99, v189, v199 :: v_dual_mul_f32 v184, v79, v13
	v_sub_f32_e32 v90, v195, v193
	v_dual_mul_f32 v176, v67, v9 :: v_dual_mul_f32 v179, v72, v11
	v_mul_f32_e32 v180, v75, v5
	v_mul_f32_e32 v181, v74, v5
	;; [unrolled: 1-line block ×5, first 2 shown]
	v_add_f32_e32 v189, v94, v87
	v_sub_f32_e32 v191, v94, v87
	v_sub_f32_e32 v87, v87, v97
	v_add_f32_e32 v103, v193, v195
	v_dual_mul_f32 v177, v66, v9 :: v_dual_sub_f32 v94, v97, v94
	v_sub_f32_e32 v93, v96, v93
	v_add_f32_e32 v193, v92, v95
	v_dual_sub_f32 v195, v92, v95 :: v_dual_sub_f32 v92, v91, v92
	v_sub_f32_e32 v95, v95, v91
	v_sub_f32_e32 v203, v90, v86
	v_fma_f32 v66, v66, v8, -v176
	v_dual_mul_f32 v176, 0x3d64c772, v100 :: v_dual_sub_f32 v85, v85, v81
	v_fmac_f32_e32 v179, v73, v10
	v_fma_f32 v73, v76, v6, -v182
	v_dual_add_f32 v76, v96, v188 :: v_dual_add_f32 v201, v90, v86
	v_dual_sub_f32 v86, v86, v82 :: v_dual_fmac_f32 v181, v75, v4
	v_fma_f32 v75, v139, v14, -v186
	v_fmac_f32_e32 v183, v77, v6
	v_dual_sub_f32 v83, v83, v96 :: v_dual_sub_f32 v90, v82, v90
	v_add_f32_e32 v197, v101, v99
	v_sub_f32_e32 v199, v101, v99
	v_sub_f32_e32 v101, v103, v101
	v_fmac_f32_e32 v177, v67, v8
	v_fma_f32 v67, v72, v10, -v178
	v_fma_f32 v72, v74, v4, -v180
	;; [unrolled: 1-line block ×3, first 2 shown]
	v_fmac_f32_e32 v185, v79, v12
	v_add_f32_e32 v78, v192, v80
	v_dual_mul_f32 v96, 0xbf08b237, v194 :: v_dual_add_f32 v79, v193, v91
	v_mul_f32_e32 v182, 0xbf08b237, v203
	v_mul_f32_e32 v184, 0x3f5ff5aa, v85
	;; [unrolled: 1-line block ×3, first 2 shown]
	v_add_f32_e32 v188, v66, v75
	v_add_f32_e32 v193, v181, v183
	v_dual_sub_f32 v75, v66, v75 :: v_dual_add_f32 v66, v68, v76
	v_add_f32_e32 v68, v70, v102
	v_dual_fmac_f32 v187, v140, v14 :: v_dual_add_f32 v192, v179, v185
	v_dual_add_f32 v77, v97, v189 :: v_dual_mul_f32 v80, 0x3f4a47b2, v83
	v_mul_f32_e32 v83, 0x3f4a47b2, v87
	v_mul_f32_e32 v140, 0x3f5ff5aa, v95
	v_dual_sub_f32 v99, v99, v103 :: v_dual_add_f32 v82, v201, v82
	v_mul_f32_e32 v178, 0x3d64c772, v101
	v_sub_f32_e32 v179, v179, v185
	v_dual_add_f32 v185, v72, v73 :: v_dual_sub_f32 v72, v73, v72
	v_add_f32_e32 v189, v177, v187
	v_mul_f32_e32 v139, 0x3f5ff5aa, v84
	v_fma_f32 v84, 0x3f5ff5aa, v84, -v96
	v_mul_f32_e32 v97, 0xbf08b237, v195
	v_dual_add_f32 v103, v103, v197 :: v_dual_mul_f32 v180, 0xbf08b237, v202
	v_dual_sub_f32 v177, v177, v187 :: v_dual_fmamk_f32 v76, v76, 0xbf955555, v66
	v_sub_f32_e32 v73, v183, v181
	v_add_f32_e32 v187, v67, v74
	v_dual_sub_f32 v74, v67, v74 :: v_dual_fmamk_f32 v181, v88, 0x3eae86e6, v96
	v_fma_f32 v88, 0xbeae86e6, v88, -v139
	v_dual_add_f32 v67, v69, v77 :: v_dual_fmac_f32 v84, 0x3ee1c552, v78
	v_mul_f32_e32 v99, 0x3f4a47b2, v99
	v_mul_f32_e32 v87, 0x3d64c772, v93
	v_dual_mul_f32 v91, 0x3d64c772, v94 :: v_dual_fmamk_f32 v70, v100, 0x3d64c772, v98
	v_dual_add_f32 v81, v200, v81 :: v_dual_fmamk_f32 v94, v94, 0x3d64c772, v83
	v_fma_f32 v96, 0x3f3bfb3b, v198, -v176
	v_fma_f32 v98, 0xbf3bfb3b, v198, -v98
	;; [unrolled: 1-line block ×4, first 2 shown]
	v_add_f32_e32 v100, v192, v189
	v_fma_f32 v95, 0x3f5ff5aa, v95, -v97
	v_fmac_f32_e32 v181, 0x3ee1c552, v78
	v_fmac_f32_e32 v88, 0x3ee1c552, v78
	v_fmamk_f32 v77, v77, 0xbf955555, v67
	v_fmamk_f32 v183, v92, 0x3eae86e6, v97
	v_fma_f32 v92, 0xbeae86e6, v92, -v140
	v_fma_f32 v97, 0x3f3bfb3b, v199, -v178
	v_dual_fmamk_f32 v140, v90, 0x3eae86e6, v182 :: v_dual_add_f32 v69, v71, v103
	v_fmamk_f32 v78, v102, 0xbf955555, v68
	v_fmamk_f32 v139, v89, 0x3eae86e6, v180
	v_fma_f32 v89, 0xbeae86e6, v89, -v184
	v_fma_f32 v90, 0xbeae86e6, v90, -v186
	v_dual_add_f32 v85, v187, v188 :: v_dual_fmac_f32 v92, 0x3ee1c552, v79
	v_sub_f32_e32 v178, v187, v188
	v_sub_f32_e32 v182, v189, v193
	v_fmamk_f32 v71, v101, 0x3d64c772, v99
	v_dual_sub_f32 v101, v188, v185 :: v_dual_fmac_f32 v140, 0x3ee1c552, v82
	v_add_f32_e32 v188, v73, v179
	v_sub_f32_e32 v184, v185, v187
	v_fmamk_f32 v93, v93, 0x3d64c772, v80
	v_fma_f32 v87, 0x3f3bfb3b, v190, -v87
	v_fma_f32 v80, 0xbf3bfb3b, v190, -v80
	v_sub_f32_e32 v180, v192, v189
	v_dual_sub_f32 v186, v193, v192 :: v_dual_add_f32 v187, v72, v74
	v_dual_fmac_f32 v176, 0x3ee1c552, v81 :: v_dual_sub_f32 v189, v72, v74
	v_sub_f32_e32 v74, v74, v75
	v_sub_f32_e32 v190, v73, v179
	v_dual_sub_f32 v73, v177, v73 :: v_dual_fmac_f32 v86, 0x3ee1c552, v82
	v_dual_sub_f32 v179, v179, v177 :: v_dual_fmac_f32 v90, 0x3ee1c552, v82
	v_add_f32_e32 v102, v185, v85
	v_mul_f32_e32 v82, 0x3d64c772, v184
	v_add_f32_e32 v96, v96, v78
	v_dual_add_f32 v94, v94, v77 :: v_dual_fmac_f32 v183, 0x3ee1c552, v79
	v_add_f32_e32 v98, v98, v78
	v_dual_sub_f32 v72, v75, v72 :: v_dual_fmac_f32 v95, 0x3ee1c552, v79
	v_add_f32_e32 v185, v187, v75
	v_mul_f32_e32 v187, 0xbf08b237, v190
	v_add_f32_e32 v93, v93, v76
	v_add_f32_e32 v87, v87, v76
	v_dual_add_f32 v76, v80, v76 :: v_dual_fmamk_f32 v79, v103, 0xbf955555, v69
	v_dual_add_f32 v103, v193, v100 :: v_dual_add_f32 v190, v70, v78
	v_add_f32_e32 v100, v64, v102
	v_fma_f32 v192, 0x3f3bfb3b, v178, -v82
	v_dual_add_f32 v82, v90, v98 :: v_dual_fmac_f32 v139, 0x3ee1c552, v81
	v_fmac_f32_e32 v89, 0x3ee1c552, v81
	v_mul_f32_e32 v81, 0x3f4a47b2, v182
	v_fma_f32 v91, 0x3f3bfb3b, v191, -v91
	v_fma_f32 v83, 0xbf3bfb3b, v191, -v83
	v_dual_mul_f32 v75, 0x3f4a47b2, v101 :: v_dual_add_f32 v70, v92, v76
	v_dual_sub_f32 v76, v76, v92 :: v_dual_mul_f32 v85, 0x3d64c772, v186
	v_fmamk_f32 v186, v186, 0x3d64c772, v81
	s_delay_alu instid0(VALU_DEP_3) | instskip(SKIP_3) | instid1(VALU_DEP_3)
	v_fmamk_f32 v184, v184, 0x3d64c772, v75
	v_mul_f32_e32 v182, 0xbf08b237, v189
	v_dual_mul_f32 v189, 0x3f5ff5aa, v179 :: v_dual_add_f32 v80, v140, v190
	v_add_f32_e32 v91, v91, v77
	v_dual_add_f32 v77, v83, v77 :: v_dual_fmamk_f32 v194, v72, 0x3eae86e6, v182
	v_dual_add_f32 v177, v188, v177 :: v_dual_sub_f32 v78, v93, v183
	v_dual_mul_f32 v188, 0x3f5ff5aa, v74 :: v_dual_add_f32 v191, v71, v79
	s_delay_alu instid0(VALU_DEP_3)
	v_dual_fmamk_f32 v92, v102, 0xbf955555, v100 :: v_dual_sub_f32 v71, v77, v88
	v_dual_add_f32 v77, v88, v77 :: v_dual_sub_f32 v88, v98, v90
	v_dual_sub_f32 v90, v190, v140 :: v_dual_fmamk_f32 v195, v73, 0x3eae86e6, v187
	v_fma_f32 v179, 0x3f5ff5aa, v179, -v187
	v_fma_f32 v187, 0xbeae86e6, v72, -v188
	;; [unrolled: 1-line block ×3, first 2 shown]
	v_add_f32_e32 v101, v65, v103
	v_fma_f32 v99, 0xbf3bfb3b, v199, -v99
	v_fma_f32 v193, 0x3f3bfb3b, v180, -v85
	v_fma_f32 v178, 0xbf3bfb3b, v178, -v75
	v_fmac_f32_e32 v188, 0x3ee1c552, v177
	v_fma_f32 v182, 0x3f5ff5aa, v74, -v182
	v_add_f32_e32 v64, v183, v93
	v_sub_f32_e32 v65, v94, v181
	v_add_f32_e32 v73, v84, v91
	v_fmamk_f32 v93, v103, 0xbf955555, v101
	v_fmac_f32_e32 v179, 0x3ee1c552, v177
	v_dual_sub_f32 v75, v91, v84 :: v_dual_sub_f32 v84, v96, v86
	v_add_f32_e32 v86, v86, v96
	v_fma_f32 v180, 0xbf3bfb3b, v180, -v81
	v_sub_f32_e32 v72, v87, v95
	v_add_f32_e32 v74, v95, v87
	v_dual_add_f32 v97, v97, v79 :: v_dual_fmac_f32 v194, 0x3ee1c552, v185
	v_dual_add_f32 v99, v99, v79 :: v_dual_fmac_f32 v182, 0x3ee1c552, v185
	v_add_f32_e32 v79, v181, v94
	v_fmac_f32_e32 v187, 0x3ee1c552, v185
	ds_store_b64 v141, v[64:65] offset:960
	ds_store_b64 v141, v[70:71] offset:1920
	;; [unrolled: 1-line block ×6, first 2 shown]
	ds_store_2addr_b64 v141, v[66:67], v[68:69] offset1:56
	v_dual_add_f32 v72, v184, v92 :: v_dual_fmac_f32 v195, 0x3ee1c552, v177
	v_dual_add_f32 v73, v186, v93 :: v_dual_add_f32 v68, v192, v92
	v_dual_add_f32 v70, v178, v92 :: v_dual_add_f32 v71, v180, v93
	v_add_f32_e32 v69, v193, v93
	v_sub_f32_e32 v81, v191, v139
	s_delay_alu instid0(VALU_DEP_4)
	v_dual_sub_f32 v87, v97, v176 :: v_dual_add_f32 v140, v194, v73
	v_add_f32_e32 v91, v139, v191
	v_dual_add_f32 v102, v195, v72 :: v_dual_sub_f32 v103, v73, v194
	v_dual_add_f32 v64, v188, v70 :: v_dual_sub_f32 v65, v71, v187
	v_dual_sub_f32 v66, v68, v179 :: v_dual_add_f32 v67, v182, v69
	v_dual_add_f32 v68, v179, v68 :: v_dual_sub_f32 v69, v69, v182
	v_dual_sub_f32 v70, v70, v188 :: v_dual_add_f32 v71, v187, v71
	v_sub_f32_e32 v139, v72, v195
	v_sub_f32_e32 v83, v99, v89
	v_add_f32_e32 v85, v176, v97
	v_add_f32_e32 v89, v89, v99
	ds_store_b64 v141, v[80:81] offset:1408
	ds_store_b64 v141, v[82:83] offset:2368
	;; [unrolled: 1-line block ×6, first 2 shown]
	s_and_saveexec_b32 s1, s0
	s_cbranch_execz .LBB0_19
; %bb.18:
	v_add_nc_u32_e32 v72, 0x800, v141
	v_add_nc_u32_e32 v73, 0x1000, v141
	ds_store_2addr_b64 v141, v[100:101], v[102:103] offset0:112 offset1:232
	ds_store_2addr_b64 v72, v[64:65], v[66:67] offset0:96 offset1:216
	;; [unrolled: 1-line block ×3, first 2 shown]
	ds_store_b64 v141, v[139:140] offset:6656
.LBB0_19:
	s_wait_alu 0xfffe
	s_or_b32 exec_lo, exec_lo, s1
	global_wb scope:SCOPE_SE
	s_wait_dscnt 0x0
	s_barrier_signal -1
	s_barrier_wait -1
	global_inv scope:SCOPE_SE
	global_load_b64 v[76:77], v[104:105], off offset:6720
	s_add_nc_u64 s[2:3], s[16:17], 0x1a40
	s_clause 0xc
	global_load_b64 v[82:83], v141, s[2:3] offset:448
	global_load_b64 v[97:98], v141, s[2:3] offset:3360
	;; [unrolled: 1-line block ×13, first 2 shown]
	ds_load_2addr_b64 v[72:75], v141 offset1:56
	s_wait_loadcnt_dscnt 0xc00
	v_dual_mul_f32 v207, v74, v83 :: v_dual_add_nc_u32 v84, 0x1000, v141
	s_delay_alu instid0(VALU_DEP_1) | instskip(SKIP_2) | instid1(VALU_DEP_2)
	v_dual_fmac_f32 v207, v75, v82 :: v_dual_mul_f32 v78, v73, v77
	v_mul_f32_e32 v79, v72, v77
	v_add_nc_u32_e32 v77, 0xc00, v141
	v_fmac_f32_e32 v79, v73, v76
	v_mul_f32_e32 v73, v75, v83
	v_fma_f32 v78, v72, v76, -v78
	v_add_nc_u32_e32 v72, 0x800, v141
	v_add_nc_u32_e32 v76, 0x400, v141
	s_delay_alu instid0(VALU_DEP_4)
	v_fma_f32 v206, v74, v82, -v73
	ds_store_b64 v141, v[78:79]
	ds_load_2addr_b64 v[78:81], v72 offset0:80 offset1:164
	ds_load_2addr_b64 v[85:88], v77 offset0:92 offset1:148
	;; [unrolled: 1-line block ×6, first 2 shown]
	s_wait_loadcnt_dscnt 0xb05
	v_mul_f32_e32 v73, v81, v98
	v_mul_f32_e32 v74, v80, v98
	s_wait_loadcnt_dscnt 0x703
	v_dual_mul_f32 v208, v92, v191 :: v_dual_mul_f32 v75, v86, v185
	s_wait_loadcnt_dscnt 0x501
	v_mul_f32_e32 v210, v177, v195
	v_dual_mul_f32 v82, v85, v185 :: v_dual_mul_f32 v83, v90, v187
	v_dual_mul_f32 v98, v89, v187 :: v_dual_mul_f32 v99, v88, v189
	s_wait_loadcnt 0x3
	v_mul_f32_e32 v212, v179, v199
	s_delay_alu instid0(VALU_DEP_3)
	v_dual_mul_f32 v185, v87, v189 :: v_dual_fmac_f32 v82, v86, v184
	s_wait_loadcnt 0x1
	v_dual_mul_f32 v209, v94, v193 :: v_dual_mul_f32 v214, v79, v203
	v_dual_mul_f32 v189, v93, v193 :: v_dual_fmac_f32 v98, v90, v186
	v_dual_mul_f32 v187, v91, v191 :: v_dual_fmac_f32 v74, v81, v97
	v_mul_f32_e32 v191, v176, v195
	v_mul_f32_e32 v211, v96, v197
	;; [unrolled: 1-line block ×3, first 2 shown]
	s_wait_dscnt 0x0
	v_mul_f32_e32 v213, v181, v201
	v_mul_f32_e32 v197, v180, v201
	;; [unrolled: 1-line block ×4, first 2 shown]
	s_wait_loadcnt 0x0
	v_mul_f32_e32 v203, v183, v205
	v_mul_f32_e32 v201, v182, v205
	v_fma_f32 v73, v80, v97, -v73
	v_fma_f32 v81, v85, v184, -v75
	;; [unrolled: 1-line block ×4, first 2 shown]
	v_fmac_f32_e32 v185, v88, v188
	v_fma_f32 v188, v93, v192, -v209
	v_fmac_f32_e32 v189, v94, v192
	v_fma_f32 v186, v91, v190, -v208
	;; [unrolled: 2-line block ×8, first 2 shown]
	v_fmac_f32_e32 v201, v183, v204
	ds_store_2addr_b64 v72, v[73:74], v[81:82] offset0:164 offset1:220
	ds_store_2addr_b64 v141, v[206:207], v[97:98] offset0:56 offset1:112
	;; [unrolled: 1-line block ×6, first 2 shown]
	ds_store_b64 v141, v[200:201] offset:6048
	s_and_saveexec_b32 s1, vcc_lo
	s_cbranch_execz .LBB0_21
; %bb.20:
	s_wait_alu 0xfffe
	v_add_co_u32 v73, s2, s2, v141
	s_wait_alu 0xf1ff
	v_add_co_ci_u32_e64 v74, null, s3, 0, s2
	s_clause 0x1
	global_load_b64 v[78:79], v[73:74], off offset:3136
	global_load_b64 v[73:74], v[73:74], off offset:6496
	ds_load_b64 v[80:81], v141 offset:3136
	ds_load_b64 v[82:83], v141 offset:6496
	s_wait_loadcnt_dscnt 0x0
	v_dual_mul_f32 v85, v81, v79 :: v_dual_mul_f32 v86, v83, v74
	v_mul_f32_e32 v75, v80, v79
	v_mul_f32_e32 v79, v82, v74
	s_delay_alu instid0(VALU_DEP_3) | instskip(NEXT) | instid1(VALU_DEP_3)
	v_fma_f32 v74, v80, v78, -v85
	v_fmac_f32_e32 v75, v81, v78
	v_fma_f32 v78, v82, v73, -v86
	s_delay_alu instid0(VALU_DEP_4)
	v_fmac_f32_e32 v79, v83, v73
	ds_store_b64 v141, v[74:75] offset:3136
	ds_store_b64 v141, v[78:79] offset:6496
.LBB0_21:
	s_wait_alu 0xfffe
	s_or_b32 exec_lo, exec_lo, s1
	global_wb scope:SCOPE_SE
	s_wait_dscnt 0x0
	s_barrier_signal -1
	s_barrier_wait -1
	global_inv scope:SCOPE_SE
	ds_load_2addr_b64 v[88:91], v141 offset1:56
	ds_load_2addr_b64 v[72:75], v72 offset0:80 offset1:164
	ds_load_2addr_b64 v[96:99], v77 offset0:92 offset1:148
	;; [unrolled: 1-line block ×6, first 2 shown]
	v_lshlrev_b32_e32 v176, 3, v164
	v_lshlrev_b32_e32 v164, 3, v167
	s_and_saveexec_b32 s1, vcc_lo
	s_cbranch_execz .LBB0_23
; %bb.22:
	ds_load_b64 v[100:101], v141 offset:3136
	ds_load_b64 v[102:103], v141 offset:6496
.LBB0_23:
	s_wait_alu 0xfffe
	s_or_b32 exec_lo, exec_lo, s1
	s_wait_dscnt 0x4
	v_dual_sub_f32 v183, v90, v96 :: v_dual_sub_f32 v184, v91, v97
	s_wait_dscnt 0x3
	v_dual_sub_f32 v98, v80, v98 :: v_dual_sub_f32 v99, v81, v99
	v_dual_sub_f32 v179, v88, v74 :: v_dual_sub_f32 v180, v89, v75
	s_delay_alu instid0(VALU_DEP_3) | instskip(SKIP_1) | instid1(VALU_DEP_4)
	v_fma_f32 v181, v90, 2.0, -v183
	v_fma_f32 v182, v91, 2.0, -v184
	;; [unrolled: 1-line block ×3, first 2 shown]
	s_wait_dscnt 0x2
	v_dual_sub_f32 v90, v82, v92 :: v_dual_sub_f32 v91, v83, v93
	v_fma_f32 v97, v81, 2.0, -v99
	s_wait_dscnt 0x0
	v_dual_sub_f32 v80, v78, v84 :: v_dual_sub_f32 v81, v79, v85
	v_dual_sub_f32 v84, v72, v86 :: v_dual_sub_f32 v85, v73, v87
	;; [unrolled: 1-line block ×4, first 2 shown]
	v_fma_f32 v177, v88, 2.0, -v179
	v_fma_f32 v178, v89, 2.0, -v180
	;; [unrolled: 1-line block ×12, first 2 shown]
	global_wb scope:SCOPE_SE
	s_barrier_signal -1
	s_barrier_wait -1
	global_inv scope:SCOPE_SE
	ds_store_b128 v146, v[177:180]
	ds_store_b128 v147, v[181:184]
	;; [unrolled: 1-line block ×7, first 2 shown]
	s_and_saveexec_b32 s1, vcc_lo
	s_cbranch_execz .LBB0_25
; %bb.24:
	ds_store_b128 v150, v[72:75]
.LBB0_25:
	s_wait_alu 0xfffe
	s_or_b32 exec_lo, exec_lo, s1
	v_add_nc_u32_e32 v76, 0x800, v141
	v_add_nc_u32_e32 v80, 0xc00, v141
	v_add_nc_u32_e32 v92, 0x1000, v141
	v_add_nc_u32_e32 v81, 0x400, v141
	global_wb scope:SCOPE_SE
	s_wait_dscnt 0x0
	s_barrier_signal -1
	s_barrier_wait -1
	global_inv scope:SCOPE_SE
	ds_load_2addr_b64 v[84:87], v141 offset1:56
	ds_load_2addr_b64 v[76:79], v76 offset0:80 offset1:164
	ds_load_2addr_b64 v[100:103], v80 offset0:92 offset1:148
	;; [unrolled: 1-line block ×6, first 2 shown]
	s_and_saveexec_b32 s1, vcc_lo
	s_cbranch_execz .LBB0_27
; %bb.26:
	ds_load_b64 v[72:73], v141 offset:3136
	ds_load_b64 v[74:75], v141 offset:6496
.LBB0_27:
	s_wait_alu 0xfffe
	s_or_b32 exec_lo, exec_lo, s1
	s_wait_dscnt 0x5
	v_mul_f32_e32 v146, v136, v79
	s_wait_dscnt 0x4
	v_mul_f32_e32 v149, v136, v100
	v_mul_f32_e32 v148, v136, v101
	global_wb scope:SCOPE_SE
	s_wait_dscnt 0x0
	s_barrier_signal -1
	s_barrier_wait -1
	v_fma_f32 v101, v135, v101, -v149
	v_mul_f32_e32 v149, v136, v93
	global_inv scope:SCOPE_SE
	v_fmac_f32_e32 v149, v135, v92
	v_dual_mul_f32 v147, v136, v78 :: v_dual_fmac_f32 v148, v135, v100
	v_mul_f32_e32 v100, v136, v97
	s_delay_alu instid0(VALU_DEP_2) | instskip(NEXT) | instid1(VALU_DEP_2)
	v_fma_f32 v79, v135, v79, -v147
	v_dual_mul_f32 v147, v136, v103 :: v_dual_fmac_f32 v100, v135, v96
	s_delay_alu instid0(VALU_DEP_2) | instskip(NEXT) | instid1(VALU_DEP_2)
	v_sub_f32_e32 v79, v85, v79
	v_fmac_f32_e32 v147, v135, v102
	v_fmac_f32_e32 v146, v135, v78
	v_mul_f32_e32 v78, v136, v102
	s_delay_alu instid0(VALU_DEP_1) | instskip(SKIP_3) | instid1(VALU_DEP_3)
	v_fma_f32 v102, v135, v103, -v78
	v_mul_f32_e32 v78, v136, v96
	v_mul_f32_e32 v96, v136, v99
	;; [unrolled: 1-line block ×3, first 2 shown]
	v_fma_f32 v97, v135, v97, -v78
	v_mul_f32_e32 v78, v136, v92
	s_delay_alu instid0(VALU_DEP_4) | instskip(NEXT) | instid1(VALU_DEP_4)
	v_fmac_f32_e32 v96, v135, v98
	v_fma_f32 v98, v135, v99, -v103
	v_mul_f32_e32 v150, v136, v75
	v_mul_f32_e32 v103, v136, v95
	v_fma_f32 v99, v135, v93, -v78
	v_mul_f32_e32 v92, v136, v94
	v_mul_f32_e32 v93, v136, v74
	v_sub_f32_e32 v78, v84, v146
	s_delay_alu instid0(VALU_DEP_4) | instskip(NEXT) | instid1(VALU_DEP_4)
	v_dual_sub_f32 v96, v80, v96 :: v_dual_sub_f32 v99, v83, v99
	v_fma_f32 v136, v135, v95, -v92
	v_sub_f32_e32 v95, v91, v97
	v_sub_f32_e32 v97, v81, v98
	v_fmac_f32_e32 v150, v135, v74
	v_dual_fmac_f32 v103, v135, v94 :: v_dual_sub_f32 v94, v90, v100
	v_fma_f32 v146, v135, v75, -v93
	v_fma_f32 v74, v84, 2.0, -v78
	v_sub_f32_e32 v84, v88, v147
	v_fma_f32 v75, v85, 2.0, -v79
	v_dual_sub_f32 v85, v89, v102 :: v_dual_sub_f32 v98, v82, v149
	v_sub_f32_e32 v135, v76, v103
	v_sub_f32_e32 v102, v72, v150
	v_dual_sub_f32 v103, v73, v146 :: v_dual_sub_f32 v92, v86, v148
	v_dual_sub_f32 v93, v87, v101 :: v_dual_sub_f32 v136, v77, v136
	s_delay_alu instid0(VALU_DEP_3) | instskip(NEXT) | instid1(VALU_DEP_3)
	v_fma_f32 v100, v72, 2.0, -v102
	v_fma_f32 v101, v73, 2.0, -v103
	s_delay_alu instid0(VALU_DEP_4) | instskip(NEXT) | instid1(VALU_DEP_4)
	v_fma_f32 v86, v86, 2.0, -v92
	v_fma_f32 v87, v87, 2.0, -v93
	;; [unrolled: 1-line block ×12, first 2 shown]
	ds_store_2addr_b64 v158, v[74:75], v[78:79] offset1:2
	ds_store_2addr_b64 v157, v[86:87], v[92:93] offset1:2
	;; [unrolled: 1-line block ×7, first 2 shown]
	s_and_saveexec_b32 s1, vcc_lo
	s_cbranch_execz .LBB0_29
; %bb.28:
	v_and_or_b32 v72, 0x37c, v143, v144
	s_delay_alu instid0(VALU_DEP_1)
	v_lshlrev_b32_e32 v72, 3, v72
	ds_store_2addr_b64 v72, v[100:101], v[102:103] offset1:2
.LBB0_29:
	s_wait_alu 0xfffe
	s_or_b32 exec_lo, exec_lo, s1
	v_add_nc_u32_e32 v72, 0x800, v141
	v_add_nc_u32_e32 v76, 0xc00, v141
	;; [unrolled: 1-line block ×4, first 2 shown]
	global_wb scope:SCOPE_SE
	s_wait_dscnt 0x0
	s_barrier_signal -1
	s_barrier_wait -1
	global_inv scope:SCOPE_SE
	ds_load_2addr_b64 v[80:83], v141 offset1:56
	ds_load_2addr_b64 v[72:75], v72 offset0:80 offset1:164
	ds_load_2addr_b64 v[96:99], v76 offset0:92 offset1:148
	;; [unrolled: 1-line block ×6, first 2 shown]
	s_and_saveexec_b32 s1, vcc_lo
	s_cbranch_execz .LBB0_31
; %bb.30:
	ds_load_b64 v[100:101], v141 offset:3136
	ds_load_b64 v[102:103], v141 offset:6496
.LBB0_31:
	s_wait_alu 0xfffe
	s_or_b32 exec_lo, exec_lo, s1
	s_wait_dscnt 0x5
	v_mul_f32_e32 v136, v138, v74
	s_wait_dscnt 0x4
	v_mul_f32_e32 v144, v138, v97
	v_mul_f32_e32 v135, v138, v75
	s_wait_dscnt 0x0
	v_mul_f32_e32 v149, v138, v103
	global_wb scope:SCOPE_SE
	s_barrier_signal -1
	v_fmac_f32_e32 v144, v137, v96
	v_fmac_f32_e32 v135, v137, v74
	v_fma_f32 v74, v137, v75, -v136
	v_mul_f32_e32 v136, v138, v95
	v_mul_f32_e32 v147, v138, v99
	s_barrier_wait -1
	global_inv scope:SCOPE_SE
	v_fmac_f32_e32 v149, v137, v102
	v_fmac_f32_e32 v136, v137, v94
	v_dual_mul_f32 v146, v138, v96 :: v_dual_fmac_f32 v147, v137, v98
	s_delay_alu instid0(VALU_DEP_1) | instskip(SKIP_4) | instid1(VALU_DEP_3)
	v_fma_f32 v75, v137, v97, -v146
	v_mul_f32_e32 v96, v138, v98
	v_mul_f32_e32 v98, v138, v92
	;; [unrolled: 1-line block ×4, first 2 shown]
	v_fma_f32 v98, v137, v93, -v98
	s_delay_alu instid0(VALU_DEP_3) | instskip(NEXT) | instid1(VALU_DEP_3)
	v_fmac_f32_e32 v146, v137, v88
	v_fmac_f32_e32 v97, v137, v92
	v_mul_f32_e32 v92, v138, v88
	v_dual_mul_f32 v93, v138, v90 :: v_dual_sub_f32 v88, v80, v135
	s_delay_alu instid0(VALU_DEP_2) | instskip(SKIP_1) | instid1(VALU_DEP_3)
	v_fma_f32 v150, v137, v89, -v92
	v_mul_f32_e32 v148, v138, v91
	v_fma_f32 v151, v137, v91, -v93
	v_dual_mul_f32 v91, v138, v102 :: v_dual_sub_f32 v92, v84, v147
	v_sub_f32_e32 v89, v81, v74
	v_fma_f32 v80, v80, 2.0, -v88
	v_sub_f32_e32 v74, v100, v149
	s_delay_alu instid0(VALU_DEP_4)
	v_fma_f32 v135, v137, v103, -v91
	v_sub_f32_e32 v91, v83, v75
	v_fma_f32 v96, v137, v99, -v96
	v_mul_f32_e32 v99, v138, v94
	v_fma_f32 v81, v81, 2.0, -v89
	v_sub_f32_e32 v103, v73, v151
	v_sub_f32_e32 v75, v101, v135
	;; [unrolled: 1-line block ×3, first 2 shown]
	v_fma_f32 v99, v137, v95, -v99
	v_dual_sub_f32 v94, v86, v97 :: v_dual_sub_f32 v95, v87, v98
	v_sub_f32_e32 v96, v76, v136
	s_delay_alu instid0(VALU_DEP_3)
	v_dual_sub_f32 v98, v78, v146 :: v_dual_sub_f32 v97, v77, v99
	v_sub_f32_e32 v99, v79, v150
	v_fmac_f32_e32 v148, v137, v90
	v_sub_f32_e32 v90, v82, v144
	v_fma_f32 v83, v83, 2.0, -v91
	v_fma_f32 v84, v84, 2.0, -v92
	;; [unrolled: 1-line block ×3, first 2 shown]
	v_sub_f32_e32 v102, v72, v148
	v_fma_f32 v82, v82, 2.0, -v90
	v_fma_f32 v86, v86, 2.0, -v94
	;; [unrolled: 1-line block ×9, first 2 shown]
	ds_store_2addr_b64 v166, v[80:81], v[88:89] offset1:4
	ds_store_2addr_b64 v165, v[82:83], v[90:91] offset1:4
	ds_store_2addr_b64 v163, v[84:85], v[92:93] offset1:4
	ds_store_2addr_b64 v162, v[86:87], v[94:95] offset1:4
	ds_store_2addr_b64 v161, v[76:77], v[96:97] offset1:4
	ds_store_2addr_b64 v160, v[78:79], v[98:99] offset1:4
	ds_store_2addr_b64 v159, v[72:73], v[102:103] offset1:4
	s_and_saveexec_b32 s1, vcc_lo
	s_cbranch_execz .LBB0_33
; %bb.32:
	v_and_or_b32 v76, 0x378, v143, v145
	v_fma_f32 v73, v101, 2.0, -v75
	v_fma_f32 v72, v100, 2.0, -v74
	s_delay_alu instid0(VALU_DEP_3)
	v_lshlrev_b32_e32 v76, 3, v76
	ds_store_2addr_b64 v76, v[72:73], v[74:75] offset1:4
.LBB0_33:
	s_wait_alu 0xfffe
	s_or_b32 exec_lo, exec_lo, s1
	v_add_nc_u32_e32 v78, 0x400, v141
	v_add_nc_u32_e32 v76, 0x1000, v141
	;; [unrolled: 1-line block ×3, first 2 shown]
	global_wb scope:SCOPE_SE
	s_wait_dscnt 0x0
	s_barrier_signal -1
	s_barrier_wait -1
	global_inv scope:SCOPE_SE
	ds_load_2addr_b64 v[79:82], v78 offset0:96 offset1:152
	ds_load_2addr_b64 v[83:86], v76 offset0:48 offset1:104
	;; [unrolled: 1-line block ×3, first 2 shown]
	ds_load_2addr_b64 v[91:94], v141 offset1:56
	ds_load_2addr_b64 v[95:98], v141 offset0:112 offset1:168
	ds_load_b64 v[72:73], v141 offset:6272
	ds_load_2addr_b64 v[99:102], v76 offset0:160 offset1:216
	ds_load_2addr_b64 v[135:138], v77 offset0:192 offset1:248
	global_wb scope:SCOPE_SE
	s_wait_dscnt 0x0
	s_barrier_signal -1
	s_barrier_wait -1
	global_inv scope:SCOPE_SE
	v_dual_mul_f32 v103, v1, v82 :: v_dual_mul_f32 v144, v3, v84
	v_dual_mul_f32 v143, v1, v81 :: v_dual_mul_f32 v148, v3, v86
	v_mul_f32_e32 v145, v3, v83
	v_mul_f32_e32 v147, v1, v87
	v_dual_mul_f32 v146, v1, v88 :: v_dual_mul_f32 v149, v3, v85
	v_dual_mul_f32 v150, v1, v90 :: v_dual_fmac_f32 v103, v0, v81
	v_fma_f32 v81, v0, v82, -v143
	v_dual_fmac_f32 v144, v2, v83 :: v_dual_mul_f32 v143, v1, v136
	v_fma_f32 v82, v2, v84, -v145
	v_fmac_f32_e32 v148, v2, v85
	v_fma_f32 v83, v0, v88, -v147
	s_delay_alu instid0(VALU_DEP_4)
	v_dual_mul_f32 v84, v1, v89 :: v_dual_fmac_f32 v143, v0, v135
	v_mul_f32_e32 v88, v3, v100
	v_fmac_f32_e32 v146, v0, v87
	v_fma_f32 v85, v2, v86, -v149
	v_fmac_f32_e32 v150, v0, v89
	v_mul_f32_e32 v86, v3, v99
	v_fma_f32 v89, v0, v90, -v84
	v_mul_f32_e32 v84, v1, v135
	v_dual_mul_f32 v135, v1, v138 :: v_dual_fmac_f32 v88, v2, v99
	v_mul_f32_e32 v1, v1, v137
	v_mul_f32_e32 v99, v3, v102
	v_sub_f32_e32 v87, v146, v148
	s_delay_alu instid0(VALU_DEP_4) | instskip(NEXT) | instid1(VALU_DEP_3)
	v_fmac_f32_e32 v135, v0, v137
	v_fmac_f32_e32 v99, v2, v101
	v_fma_f32 v90, v2, v100, -v86
	v_mul_f32_e32 v86, v3, v101
	v_fma_f32 v100, v0, v136, -v84
	v_fma_f32 v136, v0, v138, -v1
	v_add_f32_e32 v0, v103, v144
	v_add_f32_e32 v1, v91, v103
	v_fma_f32 v101, v2, v102, -v86
	v_mul_f32_e32 v102, v3, v73
	v_mul_f32_e32 v3, v3, v72
	v_sub_f32_e32 v86, v83, v85
	s_delay_alu instid0(VALU_DEP_2)
	v_fma_f32 v137, v2, v73, -v3
	v_add_f32_e32 v3, v81, v82
	v_dual_sub_f32 v73, v81, v82 :: v_dual_fmac_f32 v102, v2, v72
	v_add_f32_e32 v81, v92, v81
	v_fma_f32 v0, -0.5, v0, v91
	v_sub_f32_e32 v84, v103, v144
	v_add_f32_e32 v2, v1, v144
	v_fma_f32 v1, -0.5, v3, v92
	v_add_f32_e32 v3, v81, v82
	v_dual_fmamk_f32 v72, v73, 0xbf5db3d7, v0 :: v_dual_add_f32 v81, v146, v148
	v_add_f32_e32 v82, v93, v146
	s_delay_alu instid0(VALU_DEP_4) | instskip(SKIP_1) | instid1(VALU_DEP_4)
	v_dual_fmac_f32 v0, 0x3f5db3d7, v73 :: v_dual_fmamk_f32 v73, v84, 0x3f5db3d7, v1
	v_fmac_f32_e32 v1, 0xbf5db3d7, v84
	v_fma_f32 v93, -0.5, v81, v93
	s_delay_alu instid0(VALU_DEP_4) | instskip(SKIP_2) | instid1(VALU_DEP_2)
	v_add_f32_e32 v81, v82, v148
	v_add_f32_e32 v82, v94, v83
	v_dual_add_f32 v84, v83, v85 :: v_dual_add_f32 v91, v89, v90
	v_dual_add_f32 v103, v80, v136 :: v_dual_add_f32 v82, v82, v85
	v_add_f32_e32 v85, v150, v88
	s_delay_alu instid0(VALU_DEP_3) | instskip(SKIP_2) | instid1(VALU_DEP_4)
	v_dual_fmac_f32 v94, -0.5, v84 :: v_dual_fmamk_f32 v83, v86, 0xbf5db3d7, v93
	v_fmac_f32_e32 v93, 0x3f5db3d7, v86
	v_add_f32_e32 v86, v95, v150
	v_fma_f32 v85, -0.5, v85, v95
	s_delay_alu instid0(VALU_DEP_4) | instskip(NEXT) | instid1(VALU_DEP_3)
	v_dual_add_f32 v95, v96, v89 :: v_dual_fmamk_f32 v84, v87, 0x3f5db3d7, v94
	v_dual_fmac_f32 v94, 0xbf5db3d7, v87 :: v_dual_add_f32 v87, v86, v88
	v_fma_f32 v86, -0.5, v91, v96
	s_delay_alu instid0(VALU_DEP_3) | instskip(SKIP_3) | instid1(VALU_DEP_4)
	v_dual_sub_f32 v91, v150, v88 :: v_dual_add_f32 v88, v95, v90
	v_add_f32_e32 v95, v97, v143
	v_sub_f32_e32 v92, v89, v90
	v_add_f32_e32 v96, v100, v101
	v_fmamk_f32 v90, v91, 0x3f5db3d7, v86
	v_fmac_f32_e32 v86, 0xbf5db3d7, v91
	v_add_f32_e32 v91, v95, v99
	v_fmamk_f32 v89, v92, 0xbf5db3d7, v85
	v_dual_fmac_f32 v85, 0x3f5db3d7, v92 :: v_dual_add_f32 v92, v143, v99
	v_sub_f32_e32 v99, v143, v99
	s_delay_alu instid0(VALU_DEP_2) | instskip(SKIP_2) | instid1(VALU_DEP_2)
	v_fma_f32 v97, -0.5, v92, v97
	v_sub_f32_e32 v92, v100, v101
	v_add_f32_e32 v100, v98, v100
	v_dual_fmac_f32 v98, -0.5, v96 :: v_dual_fmamk_f32 v95, v92, 0xbf5db3d7, v97
	s_delay_alu instid0(VALU_DEP_1) | instskip(SKIP_1) | instid1(VALU_DEP_4)
	v_dual_fmac_f32 v97, 0x3f5db3d7, v92 :: v_dual_fmamk_f32 v96, v99, 0x3f5db3d7, v98
	v_dual_fmac_f32 v98, 0xbf5db3d7, v99 :: v_dual_add_f32 v99, v136, v137
	v_add_f32_e32 v92, v100, v101
	v_add_f32_e32 v100, v135, v102
	;; [unrolled: 1-line block ×3, first 2 shown]
	v_sub_f32_e32 v135, v135, v102
	s_delay_alu instid0(VALU_DEP_3) | instskip(SKIP_1) | instid1(VALU_DEP_4)
	v_fma_f32 v79, -0.5, v100, v79
	v_sub_f32_e32 v100, v136, v137
	v_dual_fmac_f32 v80, -0.5, v99 :: v_dual_add_f32 v99, v101, v102
	s_delay_alu instid0(VALU_DEP_2) | instskip(SKIP_1) | instid1(VALU_DEP_3)
	v_fmamk_f32 v101, v100, 0xbf5db3d7, v79
	v_dual_fmac_f32 v79, 0x3f5db3d7, v100 :: v_dual_add_f32 v100, v103, v137
	v_fmamk_f32 v102, v135, 0x3f5db3d7, v80
	v_fmac_f32_e32 v80, 0xbf5db3d7, v135
	ds_store_2addr_b64 v175, v[2:3], v[72:73] offset1:8
	ds_store_b64 v175, v[0:1] offset:128
	ds_store_2addr_b64 v174, v[81:82], v[83:84] offset1:8
	ds_store_b64 v174, v[93:94] offset:128
	;; [unrolled: 2-line block ×5, first 2 shown]
	global_wb scope:SCOPE_SE
	s_wait_dscnt 0x0
	s_barrier_signal -1
	s_barrier_wait -1
	global_inv scope:SCOPE_SE
	ds_load_2addr_b64 v[0:3], v141 offset0:112 offset1:168
	ds_load_2addr_b64 v[79:82], v77 offset0:80 offset1:136
	;; [unrolled: 1-line block ×5, first 2 shown]
	ds_load_2addr_b64 v[95:98], v141 offset1:56
	ds_load_2addr_b64 v[99:102], v76 offset0:48 offset1:104
	ds_load_b64 v[72:73], v141 offset:6272
	global_wb scope:SCOPE_SE
	s_wait_dscnt 0x0
	s_barrier_signal -1
	s_barrier_wait -1
	global_inv scope:SCOPE_SE
	v_mul_f32_e32 v103, v37, v3
	v_mul_f32_e32 v37, v37, v2
	v_dual_mul_f32 v135, v39, v80 :: v_dual_mul_f32 v136, v33, v86
	v_mul_f32_e32 v39, v39, v79
	s_delay_alu instid0(VALU_DEP_4) | instskip(NEXT) | instid1(VALU_DEP_4)
	v_fmac_f32_e32 v103, v36, v2
	v_fma_f32 v36, v36, v3, -v37
	s_delay_alu instid0(VALU_DEP_4)
	v_dual_fmac_f32 v135, v38, v79 :: v_dual_mul_f32 v2, v33, v85
	v_mul_f32_e32 v33, v35, v88
	v_mul_f32_e32 v3, v35, v87
	;; [unrolled: 1-line block ×3, first 2 shown]
	v_dual_mul_f32 v29, v29, v91 :: v_dual_fmac_f32 v136, v32, v85
	v_fma_f32 v37, v38, v80, -v39
	v_fma_f32 v32, v32, v86, -v2
	s_delay_alu instid0(VALU_DEP_4) | instskip(NEXT) | instid1(VALU_DEP_4)
	v_dual_mul_f32 v2, v31, v81 :: v_dual_fmac_f32 v35, v28, v91
	v_fma_f32 v38, v28, v92, -v29
	v_dual_mul_f32 v28, v27, v90 :: v_dual_fmac_f32 v33, v34, v87
	v_mul_f32_e32 v39, v31, v82
	s_delay_alu instid0(VALU_DEP_4) | instskip(SKIP_1) | instid1(VALU_DEP_4)
	v_fma_f32 v80, v30, v82, -v2
	v_mul_f32_e32 v2, v27, v89
	v_fmac_f32_e32 v28, v26, v89
	v_fma_f32 v34, v34, v88, -v3
	v_mul_f32_e32 v3, v25, v99
	v_mul_f32_e32 v82, v21, v94
	v_fma_f32 v86, v26, v90, -v2
	v_add_f32_e32 v2, v135, v136
	v_mul_f32_e32 v85, v23, v84
	v_dual_mul_f32 v79, v25, v100 :: v_dual_mul_f32 v88, v19, v73
	v_fmac_f32_e32 v82, v20, v93
	v_fmac_f32_e32 v39, v30, v81
	v_fma_f32 v81, v24, v100, -v3
	v_mul_f32_e32 v3, v21, v93
	v_fma_f32 v2, -0.5, v2, v95
	v_fmac_f32_e32 v85, v22, v83
	v_dual_fmac_f32 v79, v24, v99 :: v_dual_fmac_f32 v88, v18, v72
	s_delay_alu instid0(VALU_DEP_4) | instskip(SKIP_3) | instid1(VALU_DEP_3)
	v_fma_f32 v87, v20, v94, -v3
	v_dual_sub_f32 v20, v36, v34 :: v_dual_mul_f32 v21, v23, v83
	v_dual_mul_f32 v3, v17, v101 :: v_dual_mul_f32 v24, v19, v72
	v_dual_add_f32 v23, v103, v33 :: v_dual_add_f32 v26, v37, v32
	v_fma_f32 v83, v22, v84, -v21
	v_mul_f32_e32 v84, v17, v102
	s_delay_alu instid0(VALU_DEP_4) | instskip(SKIP_2) | instid1(VALU_DEP_4)
	v_fma_f32 v89, v16, v102, -v3
	v_dual_sub_f32 v21, v103, v135 :: v_dual_sub_f32 v22, v33, v136
	v_fma_f32 v19, -0.5, v23, v95
	v_fmac_f32_e32 v84, v16, v101
	v_fmamk_f32 v16, v20, 0xbf737871, v2
	v_dual_fmac_f32 v2, 0x3f737871, v20 :: v_dual_add_f32 v17, v95, v103
	v_dual_add_f32 v22, v21, v22 :: v_dual_add_f32 v25, v96, v36
	v_fma_f32 v18, v18, v73, -v24
	s_delay_alu instid0(VALU_DEP_3) | instskip(SKIP_3) | instid1(VALU_DEP_3)
	v_dual_sub_f32 v24, v136, v33 :: v_dual_add_f32 v3, v17, v135
	v_sub_f32_e32 v17, v37, v32
	v_sub_f32_e32 v27, v135, v136
	v_dual_sub_f32 v29, v34, v32 :: v_dual_sub_f32 v30, v32, v34
	v_dual_add_f32 v73, v82, v88 :: v_dual_fmac_f32 v16, 0xbf167918, v17
	s_delay_alu instid0(VALU_DEP_1) | instskip(SKIP_1) | instid1(VALU_DEP_2)
	v_dual_add_f32 v3, v3, v136 :: v_dual_fmac_f32 v16, 0x3e9e377a, v22
	v_fmac_f32_e32 v2, 0x3f167918, v17
	v_add_f32_e32 v21, v3, v33
	v_sub_f32_e32 v3, v135, v103
	v_fmamk_f32 v23, v17, 0x3f737871, v19
	v_fmac_f32_e32 v19, 0xbf737871, v17
	v_dual_add_f32 v17, v25, v37 :: v_dual_fmac_f32 v2, 0x3e9e377a, v22
	s_delay_alu instid0(VALU_DEP_1) | instskip(SKIP_4) | instid1(VALU_DEP_3)
	v_add_f32_e32 v22, v17, v32
	v_add_f32_e32 v24, v3, v24
	v_fmac_f32_e32 v23, 0xbf167918, v20
	v_fma_f32 v3, -0.5, v26, v96
	v_dual_sub_f32 v26, v103, v33 :: v_dual_fmac_f32 v19, 0x3f167918, v20
	v_dual_add_f32 v20, v36, v34 :: v_dual_fmac_f32 v23, 0x3e9e377a, v24
	v_add_f32_e32 v32, v97, v35
	s_delay_alu instid0(VALU_DEP_3) | instskip(NEXT) | instid1(VALU_DEP_3)
	v_dual_add_f32 v22, v22, v34 :: v_dual_fmac_f32 v19, 0x3e9e377a, v24
	v_fma_f32 v20, -0.5, v20, v96
	v_sub_f32_e32 v25, v36, v37
	v_dual_sub_f32 v34, v28, v79 :: v_dual_sub_f32 v33, v38, v86
	s_delay_alu instid0(VALU_DEP_2) | instskip(SKIP_2) | instid1(VALU_DEP_3)
	v_dual_fmamk_f32 v24, v27, 0xbf737871, v20 :: v_dual_add_f32 v29, v25, v29
	v_dual_fmac_f32 v20, 0x3f737871, v27 :: v_dual_sub_f32 v25, v37, v36
	v_add_f32_e32 v36, v35, v28
	v_fmac_f32_e32 v24, 0x3f167918, v26
	s_delay_alu instid0(VALU_DEP_3) | instskip(NEXT) | instid1(VALU_DEP_4)
	v_fmac_f32_e32 v20, 0xbf167918, v26
	v_dual_fmamk_f32 v17, v26, 0x3f737871, v3 :: v_dual_add_f32 v30, v25, v30
	v_fmac_f32_e32 v3, 0xbf737871, v26
	v_add_f32_e32 v31, v39, v79
	s_delay_alu instid0(VALU_DEP_3) | instskip(NEXT) | instid1(VALU_DEP_4)
	v_fmac_f32_e32 v17, 0x3f167918, v27
	v_fmac_f32_e32 v20, 0x3e9e377a, v30
	;; [unrolled: 1-line block ×3, first 2 shown]
	s_delay_alu instid0(VALU_DEP_4)
	v_fma_f32 v25, -0.5, v31, v97
	v_sub_f32_e32 v31, v35, v39
	v_fmac_f32_e32 v3, 0xbf167918, v27
	v_fmac_f32_e32 v17, 0x3e9e377a, v29
	v_fma_f32 v97, -0.5, v36, v97
	v_add_f32_e32 v36, v98, v38
	s_delay_alu instid0(VALU_DEP_4) | instskip(SKIP_2) | instid1(VALU_DEP_1)
	v_dual_add_f32 v34, v31, v34 :: v_dual_fmac_f32 v3, 0x3e9e377a, v29
	v_dual_sub_f32 v30, v79, v28 :: v_dual_add_f32 v29, v32, v39
	v_sub_f32_e32 v32, v80, v81
	v_dual_add_f32 v26, v29, v79 :: v_dual_fmamk_f32 v31, v32, 0x3f737871, v97
	s_delay_alu instid0(VALU_DEP_1) | instskip(SKIP_3) | instid1(VALU_DEP_4)
	v_dual_add_f32 v29, v26, v28 :: v_dual_sub_f32 v26, v39, v35
	v_fmamk_f32 v27, v33, 0xbf737871, v25
	v_fmac_f32_e32 v25, 0x3f737871, v33
	v_sub_f32_e32 v35, v35, v28
	v_dual_fmac_f32 v97, 0xbf737871, v32 :: v_dual_add_f32 v30, v26, v30
	s_delay_alu instid0(VALU_DEP_4) | instskip(NEXT) | instid1(VALU_DEP_4)
	v_fmac_f32_e32 v27, 0xbf167918, v32
	v_fmac_f32_e32 v25, 0x3f167918, v32
	v_dual_add_f32 v32, v36, v80 :: v_dual_fmac_f32 v31, 0xbf167918, v33
	s_delay_alu instid0(VALU_DEP_4) | instskip(SKIP_2) | instid1(VALU_DEP_4)
	v_fmac_f32_e32 v97, 0x3f167918, v33
	v_add_f32_e32 v33, v38, v86
	v_sub_f32_e32 v36, v38, v80
	v_dual_add_f32 v32, v32, v81 :: v_dual_fmac_f32 v27, 0x3e9e377a, v34
	v_fmac_f32_e32 v31, 0x3e9e377a, v30
	v_fmac_f32_e32 v97, 0x3e9e377a, v30
	s_delay_alu instid0(VALU_DEP_3) | instskip(SKIP_4) | instid1(VALU_DEP_3)
	v_add_f32_e32 v30, v32, v86
	v_dual_fmac_f32 v25, 0x3e9e377a, v34 :: v_dual_sub_f32 v34, v39, v79
	v_add_f32_e32 v37, v80, v81
	v_sub_f32_e32 v39, v83, v89
	v_sub_f32_e32 v79, v84, v88
	v_fma_f32 v26, -0.5, v37, v98
	v_fmac_f32_e32 v98, -0.5, v33
	s_delay_alu instid0(VALU_DEP_1) | instskip(NEXT) | instid1(VALU_DEP_3)
	v_fmamk_f32 v32, v34, 0xbf737871, v98
	v_fmamk_f32 v28, v35, 0x3f737871, v26
	v_dual_fmac_f32 v26, 0xbf737871, v35 :: v_dual_sub_f32 v37, v86, v81
	v_fmac_f32_e32 v98, 0x3f737871, v34
	s_delay_alu instid0(VALU_DEP_4) | instskip(NEXT) | instid1(VALU_DEP_4)
	v_fmac_f32_e32 v32, 0x3f167918, v35
	v_fmac_f32_e32 v28, 0x3f167918, v34
	s_delay_alu instid0(VALU_DEP_4)
	v_dual_fmac_f32 v26, 0xbf167918, v34 :: v_dual_add_f32 v33, v36, v37
	v_sub_f32_e32 v36, v80, v38
	v_add_f32_e32 v38, v85, v84
	v_dual_sub_f32 v37, v81, v86 :: v_dual_fmac_f32 v98, 0xbf167918, v35
	v_sub_f32_e32 v35, v82, v85
	v_fmac_f32_e32 v28, 0x3e9e377a, v33
	s_delay_alu instid0(VALU_DEP_4) | instskip(SKIP_4) | instid1(VALU_DEP_4)
	v_fma_f32 v72, -0.5, v38, v0
	v_sub_f32_e32 v38, v87, v18
	v_add_f32_e32 v34, v0, v82
	v_add_f32_e32 v36, v36, v37
	v_dual_fmac_f32 v26, 0x3e9e377a, v33 :: v_dual_sub_f32 v37, v88, v84
	v_fmamk_f32 v33, v38, 0xbf737871, v72
	s_delay_alu instid0(VALU_DEP_4) | instskip(SKIP_3) | instid1(VALU_DEP_4)
	v_add_f32_e32 v34, v34, v85
	v_fmac_f32_e32 v72, 0x3f737871, v38
	v_fma_f32 v0, -0.5, v73, v0
	v_add_f32_e32 v37, v35, v37
	v_dual_fmac_f32 v33, 0xbf167918, v39 :: v_dual_add_f32 v34, v34, v84
	s_delay_alu instid0(VALU_DEP_4) | instskip(SKIP_1) | instid1(VALU_DEP_3)
	v_fmac_f32_e32 v72, 0x3f167918, v39
	v_fmac_f32_e32 v32, 0x3e9e377a, v36
	v_dual_fmac_f32 v98, 0x3e9e377a, v36 :: v_dual_fmac_f32 v33, 0x3e9e377a, v37
	s_delay_alu instid0(VALU_DEP_3) | instskip(SKIP_4) | instid1(VALU_DEP_4)
	v_dual_add_f32 v35, v34, v88 :: v_dual_fmac_f32 v72, 0x3e9e377a, v37
	v_dual_fmamk_f32 v37, v39, 0x3f737871, v0 :: v_dual_sub_f32 v36, v85, v82
	v_add_f32_e32 v34, v83, v89
	v_fmac_f32_e32 v0, 0xbf737871, v39
	v_dual_add_f32 v39, v1, v87 :: v_dual_sub_f32 v80, v82, v88
	v_dual_fmac_f32 v37, 0xbf167918, v38 :: v_dual_add_f32 v36, v36, v79
	s_delay_alu instid0(VALU_DEP_4) | instskip(NEXT) | instid1(VALU_DEP_4)
	v_fma_f32 v73, -0.5, v34, v1
	v_dual_fmac_f32 v0, 0x3f167918, v38 :: v_dual_sub_f32 v79, v85, v84
	s_delay_alu instid0(VALU_DEP_3) | instskip(NEXT) | instid1(VALU_DEP_3)
	v_dual_add_f32 v38, v39, v83 :: v_dual_fmac_f32 v37, 0x3e9e377a, v36
	v_dual_add_f32 v39, v87, v18 :: v_dual_fmamk_f32 v34, v80, 0x3f737871, v73
	s_delay_alu instid0(VALU_DEP_3) | instskip(NEXT) | instid1(VALU_DEP_3)
	v_fmac_f32_e32 v0, 0x3e9e377a, v36
	v_dual_add_f32 v36, v38, v89 :: v_dual_fmac_f32 v73, 0xbf737871, v80
	s_delay_alu instid0(VALU_DEP_3) | instskip(SKIP_2) | instid1(VALU_DEP_4)
	v_fmac_f32_e32 v1, -0.5, v39
	v_sub_f32_e32 v39, v87, v83
	v_dual_fmac_f32 v34, 0x3f167918, v79 :: v_dual_sub_f32 v81, v18, v89
	v_add_f32_e32 v36, v36, v18
	s_delay_alu instid0(VALU_DEP_4) | instskip(SKIP_2) | instid1(VALU_DEP_3)
	v_fmamk_f32 v38, v79, 0xbf737871, v1
	v_fmac_f32_e32 v1, 0x3f737871, v79
	v_dual_sub_f32 v82, v83, v87 :: v_dual_sub_f32 v83, v89, v18
	v_dual_add_f32 v39, v39, v81 :: v_dual_fmac_f32 v38, 0x3f167918, v80
	v_fmac_f32_e32 v73, 0xbf167918, v79
	s_delay_alu instid0(VALU_DEP_4) | instskip(NEXT) | instid1(VALU_DEP_4)
	v_fmac_f32_e32 v1, 0xbf167918, v80
	v_add_f32_e32 v79, v82, v83
	s_delay_alu instid0(VALU_DEP_4) | instskip(NEXT) | instid1(VALU_DEP_4)
	v_fmac_f32_e32 v34, 0x3e9e377a, v39
	v_fmac_f32_e32 v73, 0x3e9e377a, v39
	s_delay_alu instid0(VALU_DEP_3)
	v_fmac_f32_e32 v38, 0x3e9e377a, v79
	v_fmac_f32_e32 v1, 0x3e9e377a, v79
	ds_store_2addr_b64 v173, v[21:22], v[16:17] offset1:24
	ds_store_2addr_b64 v173, v[23:24], v[19:20] offset0:48 offset1:72
	ds_store_b64 v173, v[2:3] offset:768
	ds_store_2addr_b64 v170, v[29:30], v[27:28] offset1:24
	ds_store_2addr_b64 v170, v[31:32], v[97:98] offset0:48 offset1:72
	ds_store_b64 v170, v[25:26] offset:768
	;; [unrolled: 3-line block ×3, first 2 shown]
	v_add_nc_u32_e32 v16, 0xc00, v141
	v_add_nc_u32_e32 v17, 0x1400, v141
	global_wb scope:SCOPE_SE
	s_wait_dscnt 0x0
	s_barrier_signal -1
	s_barrier_wait -1
	global_inv scope:SCOPE_SE
	ds_load_2addr_b64 v[0:3], v141 offset1:56
	ds_load_2addr_b64 v[36:39], v141 offset0:120 offset1:176
	ds_load_2addr_b64 v[32:35], v78 offset0:112 offset1:168
	;; [unrolled: 1-line block ×6, first 2 shown]
	s_and_saveexec_b32 s1, s0
	s_cbranch_execz .LBB0_35
; %bb.34:
	ds_load_2addr_b64 v[72:75], v141 offset0:112 offset1:232
	ds_load_2addr_b64 v[64:67], v77 offset0:96 offset1:216
	ds_load_2addr_b64 v[68:71], v76 offset0:80 offset1:200
	ds_load_b64 v[139:140], v141 offset:6656
.LBB0_35:
	s_wait_alu 0xfffe
	s_or_b32 exec_lo, exec_lo, s1
	s_wait_dscnt 0x5
	v_mul_f32_e32 v76, v61, v37
	v_mul_f32_e32 v61, v61, v36
	s_wait_dscnt 0x4
	v_mul_f32_e32 v77, v63, v33
	v_mul_f32_e32 v63, v63, v32
	v_fmac_f32_e32 v76, v60, v36
	v_fma_f32 v36, v60, v37, -v61
	s_wait_dscnt 0x1
	v_dual_fmac_f32 v77, v62, v32 :: v_dual_mul_f32 v60, v41, v21
	v_fma_f32 v32, v62, v33, -v63
	v_mul_f32_e32 v33, v53, v29
	v_mul_f32_e32 v37, v53, v28
	s_delay_alu instid0(VALU_DEP_4) | instskip(SKIP_1) | instid1(VALU_DEP_2)
	v_dual_mul_f32 v53, v55, v25 :: v_dual_fmac_f32 v60, v40, v20
	v_mul_f32_e32 v20, v41, v20
	v_fmac_f32_e32 v53, v54, v24
	s_delay_alu instid0(VALU_DEP_2)
	v_fma_f32 v20, v40, v21, -v20
	v_dual_mul_f32 v40, v51, v27 :: v_dual_fmac_f32 v33, v52, v28
	v_fma_f32 v28, v52, v29, -v37
	v_mul_f32_e32 v37, v57, v39
	v_mul_f32_e32 v41, v57, v38
	s_wait_dscnt 0x0
	v_dual_mul_f32 v29, v43, v16 :: v_dual_fmac_f32 v40, v50, v26
	s_delay_alu instid0(VALU_DEP_3) | instskip(NEXT) | instid1(VALU_DEP_1)
	v_dual_fmac_f32 v37, v56, v38 :: v_dual_mul_f32 v38, v59, v35
	v_dual_mul_f32 v55, v55, v24 :: v_dual_fmac_f32 v38, v58, v34
	s_delay_alu instid0(VALU_DEP_1) | instskip(SKIP_2) | instid1(VALU_DEP_2)
	v_fma_f32 v24, v54, v25, -v55
	v_mul_f32_e32 v25, v43, v17
	v_mul_f32_e32 v21, v49, v30
	v_fmac_f32_e32 v25, v42, v16
	v_fma_f32 v16, v42, v17, -v29
	v_fma_f32 v29, v56, v39, -v41
	v_mul_f32_e32 v39, v49, v31
	v_mul_f32_e32 v17, v59, v34
	s_delay_alu instid0(VALU_DEP_2) | instskip(SKIP_3) | instid1(VALU_DEP_2)
	v_fmac_f32_e32 v39, v48, v30
	v_fma_f32 v30, v48, v31, -v21
	v_mul_f32_e32 v31, v45, v23
	v_mul_f32_e32 v21, v45, v22
	v_fmac_f32_e32 v31, v44, v22
	v_add_f32_e32 v22, v32, v20
	v_sub_f32_e32 v20, v32, v20
	v_fma_f32 v34, v58, v35, -v17
	v_mul_f32_e32 v17, v51, v26
	v_mul_f32_e32 v35, v47, v19
	;; [unrolled: 1-line block ×3, first 2 shown]
	s_delay_alu instid0(VALU_DEP_2) | instskip(NEXT) | instid1(VALU_DEP_2)
	v_fmac_f32_e32 v35, v46, v18
	v_fma_f32 v43, v46, v19, -v26
	v_add_f32_e32 v18, v36, v16
	v_sub_f32_e32 v16, v36, v16
	v_add_f32_e32 v26, v28, v24
	v_sub_f32_e32 v24, v24, v28
	s_delay_alu instid0(VALU_DEP_4) | instskip(SKIP_1) | instid1(VALU_DEP_3)
	v_add_f32_e32 v32, v22, v18
	v_sub_f32_e32 v36, v22, v18
	v_dual_sub_f32 v18, v18, v26 :: v_dual_add_f32 v45, v24, v20
	v_sub_f32_e32 v47, v24, v20
	v_sub_f32_e32 v24, v16, v24
	v_fma_f32 v41, v50, v27, -v17
	v_dual_sub_f32 v27, v53, v33 :: v_dual_sub_f32 v20, v20, v16
	v_fma_f32 v42, v44, v23, -v21
	v_sub_f32_e32 v23, v77, v60
	v_dual_add_f32 v21, v77, v60 :: v_dual_mul_f32 v18, 0x3f4a47b2, v18
	v_sub_f32_e32 v22, v26, v22
	v_add_f32_e32 v26, v26, v32
	s_delay_alu instid0(VALU_DEP_4) | instskip(SKIP_1) | instid1(VALU_DEP_4)
	v_dual_add_f32 v44, v27, v23 :: v_dual_add_f32 v17, v76, v25
	v_sub_f32_e32 v19, v76, v25
	v_dual_add_f32 v25, v33, v53 :: v_dual_mul_f32 v32, 0x3d64c772, v22
	s_delay_alu instid0(VALU_DEP_4) | instskip(NEXT) | instid1(VALU_DEP_4)
	v_add_f32_e32 v1, v1, v26
	v_add_f32_e32 v28, v21, v17
	v_sub_f32_e32 v33, v21, v17
	s_delay_alu instid0(VALU_DEP_4) | instskip(SKIP_3) | instid1(VALU_DEP_3)
	v_sub_f32_e32 v17, v17, v25
	v_dual_sub_f32 v21, v25, v21 :: v_dual_fmamk_f32 v22, v22, 0x3d64c772, v18
	v_fmamk_f32 v26, v26, 0xbf955555, v1
	v_fma_f32 v32, 0x3f3bfb3b, v36, -v32
	v_dual_add_f32 v25, v25, v28 :: v_dual_mul_f32 v28, 0x3d64c772, v21
	v_sub_f32_e32 v46, v27, v23
	v_sub_f32_e32 v27, v19, v27
	v_mul_f32_e32 v17, 0x3f4a47b2, v17
	s_delay_alu instid0(VALU_DEP_4) | instskip(SKIP_1) | instid1(VALU_DEP_3)
	v_add_f32_e32 v0, v0, v25
	v_fma_f32 v18, 0xbf3bfb3b, v36, -v18
	v_fmamk_f32 v21, v21, 0x3d64c772, v17
	s_delay_alu instid0(VALU_DEP_3) | instskip(SKIP_2) | instid1(VALU_DEP_2)
	v_fmamk_f32 v25, v25, 0xbf955555, v0
	v_sub_f32_e32 v23, v23, v19
	v_dual_add_f32 v19, v44, v19 :: v_dual_mul_f32 v44, 0x3f08b237, v46
	v_mul_f32_e32 v46, 0xbf5ff5aa, v23
	v_fma_f32 v28, 0x3f3bfb3b, v33, -v28
	v_fma_f32 v17, 0xbf3bfb3b, v33, -v17
	s_delay_alu instid0(VALU_DEP_4) | instskip(NEXT) | instid1(VALU_DEP_4)
	v_fmamk_f32 v33, v27, 0xbeae86e6, v44
	v_fma_f32 v27, 0x3eae86e6, v27, -v46
	v_add_f32_e32 v46, v22, v26
	v_add_f32_e32 v16, v45, v16
	;; [unrolled: 1-line block ×4, first 2 shown]
	v_dual_add_f32 v26, v18, v26 :: v_dual_mul_f32 v45, 0x3f08b237, v47
	v_fma_f32 v23, 0xbf5ff5aa, v23, -v44
	v_add_f32_e32 v32, v29, v43
	s_delay_alu instid0(VALU_DEP_3) | instskip(SKIP_1) | instid1(VALU_DEP_2)
	v_fmamk_f32 v36, v24, 0xbeae86e6, v45
	v_fma_f32 v44, 0xbf5ff5aa, v20, -v45
	v_dual_add_f32 v45, v21, v25 :: v_dual_fmac_f32 v36, 0xbee1c552, v16
	s_delay_alu instid0(VALU_DEP_2) | instskip(SKIP_2) | instid1(VALU_DEP_3)
	v_fmac_f32_e32 v44, 0xbee1c552, v16
	v_mul_f32_e32 v47, 0xbf5ff5aa, v20
	v_fmac_f32_e32 v23, 0xbee1c552, v19
	v_dual_fmac_f32 v27, 0xbee1c552, v19 :: v_dual_sub_f32 v20, v22, v44
	s_delay_alu instid0(VALU_DEP_3) | instskip(SKIP_1) | instid1(VALU_DEP_4)
	v_fma_f32 v24, 0x3eae86e6, v24, -v47
	v_dual_add_f32 v22, v44, v22 :: v_dual_add_f32 v25, v17, v25
	v_add_f32_e32 v21, v23, v28
	s_delay_alu instid0(VALU_DEP_3) | instskip(SKIP_2) | instid1(VALU_DEP_3)
	v_dual_sub_f32 v23, v28, v23 :: v_dual_fmac_f32 v24, 0xbee1c552, v16
	v_add_f32_e32 v16, v36, v45
	v_add_f32_e32 v28, v37, v35
	;; [unrolled: 1-line block ×3, first 2 shown]
	v_dual_sub_f32 v24, v25, v24 :: v_dual_fmac_f32 v33, 0xbee1c552, v19
	v_sub_f32_e32 v19, v26, v27
	v_dual_add_f32 v25, v27, v26 :: v_dual_sub_f32 v26, v45, v36
	v_add_f32_e32 v36, v34, v42
	s_delay_alu instid0(VALU_DEP_4)
	v_sub_f32_e32 v17, v46, v33
	v_add_f32_e32 v27, v33, v46
	v_sub_f32_e32 v33, v37, v35
	v_add_f32_e32 v35, v38, v31
	;; [unrolled: 2-line block ×3, first 2 shown]
	v_dual_sub_f32 v30, v41, v30 :: v_dual_add_f32 v41, v36, v32
	v_dual_sub_f32 v29, v29, v43 :: v_dual_sub_f32 v34, v34, v42
	v_sub_f32_e32 v43, v36, v32
	s_delay_alu instid0(VALU_DEP_4)
	v_sub_f32_e32 v32, v32, v38
	v_sub_f32_e32 v36, v38, v36
	v_dual_add_f32 v38, v38, v41 :: v_dual_add_f32 v37, v39, v40
	v_sub_f32_e32 v39, v40, v39
	v_add_f32_e32 v45, v30, v34
	v_sub_f32_e32 v47, v30, v34
	v_sub_f32_e32 v30, v29, v30
	v_add_f32_e32 v40, v35, v28
	v_sub_f32_e32 v42, v35, v28
	v_sub_f32_e32 v34, v34, v29
	v_dual_sub_f32 v28, v28, v37 :: v_dual_sub_f32 v35, v37, v35
	v_mul_f32_e32 v32, 0x3f4a47b2, v32
	v_add_f32_e32 v37, v37, v40
	s_delay_alu instid0(VALU_DEP_3) | instskip(NEXT) | instid1(VALU_DEP_1)
	v_dual_add_f32 v3, v3, v38 :: v_dual_mul_f32 v28, 0x3f4a47b2, v28
	v_dual_mul_f32 v40, 0x3d64c772, v35 :: v_dual_fmamk_f32 v35, v35, 0x3d64c772, v28
	s_delay_alu instid0(VALU_DEP_4) | instskip(NEXT) | instid1(VALU_DEP_4)
	v_dual_mul_f32 v41, 0x3d64c772, v36 :: v_dual_fmamk_f32 v36, v36, 0x3d64c772, v32
	v_add_f32_e32 v2, v2, v37
	v_add_f32_e32 v44, v39, v31
	v_sub_f32_e32 v46, v39, v31
	v_sub_f32_e32 v39, v33, v39
	;; [unrolled: 1-line block ×3, first 2 shown]
	v_fma_f32 v40, 0x3f3bfb3b, v42, -v40
	s_delay_alu instid0(VALU_DEP_4) | instskip(SKIP_3) | instid1(VALU_DEP_4)
	v_dual_add_f32 v33, v44, v33 :: v_dual_mul_f32 v44, 0x3f08b237, v46
	v_fma_f32 v28, 0xbf3bfb3b, v42, -v28
	v_fmamk_f32 v37, v37, 0xbf955555, v2
	v_fma_f32 v32, 0xbf3bfb3b, v43, -v32
	v_fmamk_f32 v42, v39, 0xbeae86e6, v44
	s_delay_alu instid0(VALU_DEP_1) | instskip(SKIP_3) | instid1(VALU_DEP_2)
	v_fmac_f32_e32 v42, 0xbee1c552, v33
	v_fmamk_f32 v38, v38, 0xbf955555, v3
	v_dual_mul_f32 v46, 0xbf5ff5aa, v31 :: v_dual_add_f32 v29, v45, v29
	v_fma_f32 v44, 0xbf5ff5aa, v31, -v44
	v_fma_f32 v39, 0x3eae86e6, v39, -v46
	v_add_f32_e32 v46, v35, v37
	v_fma_f32 v41, 0x3f3bfb3b, v43, -v41
	v_mul_f32_e32 v45, 0x3f08b237, v47
	v_add_f32_e32 v35, v40, v37
	v_add_f32_e32 v37, v28, v37
	v_mul_f32_e32 v47, 0xbf5ff5aa, v34
	v_fmac_f32_e32 v44, 0xbee1c552, v33
	v_fma_f32 v34, 0xbf5ff5aa, v34, -v45
	v_fmamk_f32 v43, v30, 0xbeae86e6, v45
	v_fmac_f32_e32 v39, 0xbee1c552, v33
	v_fma_f32 v45, 0x3eae86e6, v30, -v47
	v_add_f32_e32 v47, v36, v38
	v_add_f32_e32 v36, v41, v38
	;; [unrolled: 1-line block ×3, first 2 shown]
	v_fmac_f32_e32 v34, 0xbee1c552, v29
	v_fmac_f32_e32 v45, 0xbee1c552, v29
	s_delay_alu instid0(VALU_DEP_4) | instskip(NEXT) | instid1(VALU_DEP_3)
	v_add_f32_e32 v33, v44, v36
	v_dual_sub_f32 v31, v38, v39 :: v_dual_sub_f32 v32, v35, v34
	v_fmac_f32_e32 v43, 0xbee1c552, v29
	v_dual_sub_f32 v29, v47, v42 :: v_dual_add_f32 v34, v34, v35
	v_dual_add_f32 v30, v45, v37 :: v_dual_sub_f32 v35, v36, v44
	s_delay_alu instid0(VALU_DEP_3)
	v_add_f32_e32 v28, v43, v46
	v_dual_sub_f32 v36, v37, v45 :: v_dual_add_f32 v37, v39, v38
	v_sub_f32_e32 v38, v46, v43
	v_add_f32_e32 v39, v42, v47
	ds_store_b64 v141, v[16:17] offset:960
	ds_store_b64 v141, v[18:19] offset:1920
	ds_store_b64 v141, v[20:21] offset:2880
	ds_store_b64 v141, v[22:23] offset:3840
	ds_store_b64 v141, v[24:25] offset:4800
	ds_store_b64 v141, v[26:27] offset:5760
	ds_store_2addr_b64 v141, v[0:1], v[2:3] offset1:56
	ds_store_b64 v141, v[28:29] offset:1408
	ds_store_b64 v141, v[30:31] offset:2368
	;; [unrolled: 1-line block ×6, first 2 shown]
	s_and_saveexec_b32 s1, s0
	s_cbranch_execz .LBB0_37
; %bb.36:
	v_dual_mul_f32 v0, v9, v75 :: v_dual_mul_f32 v1, v7, v69
	v_dual_mul_f32 v16, v13, v71 :: v_dual_mul_f32 v17, v15, v140
	;; [unrolled: 1-line block ×3, first 2 shown]
	s_delay_alu instid0(VALU_DEP_3) | instskip(NEXT) | instid1(VALU_DEP_2)
	v_dual_fmac_f32 v0, v8, v74 :: v_dual_fmac_f32 v1, v6, v68
	v_dual_fmac_f32 v17, v14, v139 :: v_dual_fmac_f32 v2, v4, v66
	v_mul_f32_e32 v15, v15, v139
	s_delay_alu instid0(VALU_DEP_4) | instskip(NEXT) | instid1(VALU_DEP_3)
	v_dual_fmac_f32 v3, v10, v64 :: v_dual_fmac_f32 v16, v12, v70
	v_dual_sub_f32 v20, v0, v17 :: v_dual_mul_f32 v13, v13, v70
	s_delay_alu instid0(VALU_DEP_3) | instskip(SKIP_4) | instid1(VALU_DEP_4)
	v_fma_f32 v14, v14, v140, -v15
	v_mul_f32_e32 v9, v9, v74
	v_dual_mul_f32 v11, v11, v64 :: v_dual_sub_f32 v18, v1, v2
	v_sub_f32_e32 v19, v3, v16
	v_mul_f32_e32 v5, v5, v66
	v_fma_f32 v8, v8, v75, -v9
	v_dual_add_f32 v17, v17, v0 :: v_dual_add_f32 v16, v16, v3
	v_fma_f32 v9, v12, v71, -v13
	v_dual_add_f32 v2, v2, v1 :: v_dual_mul_f32 v7, v7, v68
	v_fma_f32 v10, v10, v65, -v11
	v_sub_f32_e32 v21, v18, v19
	v_add_f32_e32 v12, v14, v8
	v_fma_f32 v4, v4, v67, -v5
	v_fma_f32 v5, v6, v69, -v7
	v_dual_add_f32 v6, v9, v10 :: v_dual_add_f32 v11, v18, v19
	v_sub_f32_e32 v15, v20, v18
	v_sub_f32_e32 v8, v8, v14
	s_delay_alu instid0(VALU_DEP_3) | instskip(NEXT) | instid1(VALU_DEP_4)
	v_add_f32_e32 v18, v6, v12
	v_add_f32_e32 v7, v11, v20
	v_dual_add_f32 v11, v4, v5 :: v_dual_sub_f32 v4, v5, v4
	v_sub_f32_e32 v5, v10, v9
	s_delay_alu instid0(VALU_DEP_2) | instskip(SKIP_2) | instid1(VALU_DEP_3)
	v_dual_mul_f32 v21, 0x3f08b237, v21 :: v_dual_sub_f32 v22, v12, v11
	v_sub_f32_e32 v0, v11, v6
	v_dual_add_f32 v18, v11, v18 :: v_dual_add_f32 v3, v16, v17
	v_dual_sub_f32 v10, v4, v5 :: v_dual_fmamk_f32 v13, v15, 0xbeae86e6, v21
	s_delay_alu instid0(VALU_DEP_2) | instskip(NEXT) | instid1(VALU_DEP_2)
	v_add_f32_e32 v1, v73, v18
	v_dual_add_f32 v3, v2, v3 :: v_dual_mul_f32 v10, 0x3f08b237, v10
	v_mul_f32_e32 v11, 0x3f4a47b2, v22
	v_mul_f32_e32 v22, 0x3d64c772, v0
	s_delay_alu instid0(VALU_DEP_4) | instskip(NEXT) | instid1(VALU_DEP_3)
	v_fmamk_f32 v18, v18, 0xbf955555, v1
	v_dual_fmamk_f32 v23, v0, 0x3d64c772, v11 :: v_dual_sub_f32 v0, v17, v2
	v_dual_sub_f32 v2, v2, v16 :: v_dual_fmac_f32 v13, 0xbee1c552, v7
	s_delay_alu instid0(VALU_DEP_2) | instskip(SKIP_1) | instid1(VALU_DEP_1)
	v_dual_add_f32 v14, v23, v18 :: v_dual_mul_f32 v9, 0x3f4a47b2, v0
	v_add_f32_e32 v0, v72, v3
	v_fmamk_f32 v24, v3, 0xbf955555, v0
	v_sub_f32_e32 v19, v19, v20
	v_sub_f32_e32 v25, v8, v4
	v_add_f32_e32 v4, v4, v5
	s_delay_alu instid0(VALU_DEP_3) | instskip(NEXT) | instid1(VALU_DEP_2)
	v_mul_f32_e32 v26, 0xbf5ff5aa, v19
	v_add_f32_e32 v4, v4, v8
	s_delay_alu instid0(VALU_DEP_2) | instskip(SKIP_2) | instid1(VALU_DEP_3)
	v_fma_f32 v15, 0x3eae86e6, v15, -v26
	v_sub_f32_e32 v6, v6, v12
	v_dual_sub_f32 v12, v16, v17 :: v_dual_fmamk_f32 v23, v2, 0x3d64c772, v9
	v_dual_sub_f32 v16, v5, v8 :: v_dual_fmac_f32 v15, 0xbee1c552, v7
	s_delay_alu instid0(VALU_DEP_3) | instskip(NEXT) | instid1(VALU_DEP_3)
	v_fma_f32 v5, 0xbf3bfb3b, v6, -v11
	v_dual_add_f32 v3, v13, v14 :: v_dual_add_f32 v20, v23, v24
	v_fmamk_f32 v23, v25, 0xbeae86e6, v10
	v_fma_f32 v9, 0xbf3bfb3b, v12, -v9
	v_fma_f32 v8, 0xbf5ff5aa, v19, -v21
	v_add_f32_e32 v17, v5, v18
	v_fma_f32 v5, 0x3f3bfb3b, v6, -v22
	v_mul_f32_e32 v2, 0x3d64c772, v2
	v_fma_f32 v10, 0xbf5ff5aa, v16, -v10
	v_fmac_f32_e32 v8, 0xbee1c552, v7
	v_add_f32_e32 v26, v9, v24
	v_add_f32_e32 v9, v5, v18
	s_delay_alu instid0(VALU_DEP_4) | instskip(SKIP_2) | instid1(VALU_DEP_4)
	v_dual_add_f32 v5, v15, v17 :: v_dual_fmac_f32 v10, 0xbee1c552, v4
	v_mul_f32_e32 v11, 0xbf5ff5aa, v16
	v_fma_f32 v2, 0x3f3bfb3b, v12, -v2
	v_sub_f32_e32 v7, v9, v8
	v_add_f32_e32 v9, v8, v9
	v_sub_f32_e32 v13, v14, v13
	v_add_nc_u32_e32 v14, 0x800, v141
	v_fma_f32 v25, 0x3eae86e6, v25, -v11
	v_add_f32_e32 v2, v2, v24
	v_fmac_f32_e32 v23, 0xbee1c552, v4
	s_delay_alu instid0(VALU_DEP_2) | instskip(SKIP_1) | instid1(VALU_DEP_3)
	v_dual_fmac_f32 v25, 0xbee1c552, v4 :: v_dual_add_f32 v6, v10, v2
	v_dual_sub_f32 v8, v2, v10 :: v_dual_sub_f32 v11, v17, v15
	v_add_f32_e32 v12, v23, v20
	s_delay_alu instid0(VALU_DEP_3)
	v_add_f32_e32 v10, v25, v26
	v_sub_f32_e32 v4, v26, v25
	v_dual_sub_f32 v2, v20, v23 :: v_dual_add_nc_u32 v15, 0x1000, v141
	ds_store_2addr_b64 v141, v[0:1], v[12:13] offset0:112 offset1:232
	ds_store_2addr_b64 v14, v[10:11], v[8:9] offset0:96 offset1:216
	;; [unrolled: 1-line block ×3, first 2 shown]
	ds_store_b64 v141, v[2:3] offset:6656
.LBB0_37:
	s_wait_alu 0xfffe
	s_or_b32 exec_lo, exec_lo, s1
	global_wb scope:SCOPE_SE
	s_wait_dscnt 0x0
	s_barrier_signal -1
	s_barrier_wait -1
	global_inv scope:SCOPE_SE
	ds_load_2addr_b64 v[0:3], v141 offset1:56
	v_add_nc_u32_e32 v4, 0x800, v141
	v_mad_co_u64_u32 v[26:27], null, s4, v142, 0
	ds_load_2addr_b64 v[8:11], v141 offset0:112 offset1:168
	v_mad_co_u64_u32 v[24:25], null, s6, v106, 0
	s_mov_b32 s2, 0x13813814
	s_mov_b32 s3, 0x3f538138
	v_mov_b32_e32 v21, v27
	s_wait_dscnt 0x1
	v_mul_f32_e32 v19, v130, v3
	ds_load_2addr_b64 v[4:7], v4 offset0:80 offset1:164
	v_dual_mul_f32 v17, v128, v1 :: v_dual_mul_f32 v20, v130, v2
	v_mul_f32_e32 v18, v128, v0
	v_add_nc_u32_e32 v12, 0xc00, v141
	v_add_nc_u32_e32 v22, 0x1000, v141
	v_dual_fmac_f32 v19, v129, v2 :: v_dual_add_nc_u32 v16, 0x400, v141
	v_fmac_f32_e32 v17, v127, v0
	v_fma_f32 v0, v127, v1, -v18
	v_fma_f32 v2, v129, v3, -v20
	s_wait_dscnt 0x1
	v_dual_mov_b32 v20, v25 :: v_dual_mul_f32 v41, v108, v8
	v_cvt_f64_f32_e32 v[28:29], v17
	v_cvt_f64_f32_e32 v[30:31], v19
	;; [unrolled: 1-line block ×3, first 2 shown]
	ds_load_2addr_b64 v[12:15], v12 offset0:92 offset1:148
	v_fma_f32 v41, v107, v9, -v41
	v_mad_co_u64_u32 v[38:39], null, s7, v106, v[20:21]
	s_wait_dscnt 0x1
	v_mul_f32_e32 v1, v126, v7
	v_mul_f32_e32 v18, v126, v6
	v_mad_co_u64_u32 v[39:40], null, s5, v142, v[21:22]
	s_delay_alu instid0(VALU_DEP_3) | instskip(SKIP_1) | instid1(VALU_DEP_4)
	v_dual_mul_f32 v40, v108, v9 :: v_dual_fmac_f32 v1, v125, v6
	v_mov_b32_e32 v25, v38
	v_fma_f32 v3, v125, v7, -v18
	v_cvt_f64_f32_e32 v[6:7], v0
	v_dual_mul_f32 v42, v120, v11 :: v_dual_mov_b32 v27, v39
	v_cvt_f64_f32_e32 v[34:35], v1
	s_delay_alu instid0(VALU_DEP_4)
	v_cvt_f64_f32_e32 v[36:37], v3
	ds_load_2addr_b64 v[0:3], v22 offset0:76 offset1:132
	v_dual_mul_f32 v43, v120, v10 :: v_dual_fmac_f32 v40, v107, v8
	ds_load_2addr_b64 v[16:19], v16 offset0:96 offset1:152
	v_fmac_f32_e32 v42, v119, v10
	s_wait_dscnt 0x2
	v_dual_mul_f32 v38, v112, v13 :: v_dual_mul_f32 v45, v110, v14
	v_fma_f32 v43, v119, v11, -v43
	v_dual_mul_f32 v39, v112, v12 :: v_dual_mul_f32 v44, v110, v15
	s_delay_alu instid0(VALU_DEP_3)
	v_fmac_f32_e32 v38, v111, v12
	ds_load_2addr_b64 v[20:23], v22 offset0:188 offset1:244
	v_lshlrev_b64_e32 v[24:25], 3, v[24:25]
	v_fma_f32 v55, v111, v13, -v39
	v_cvt_f64_f32_e32 v[12:13], v40
	v_fmac_f32_e32 v44, v109, v14
	v_fma_f32 v40, v109, v15, -v45
	v_lshlrev_b64_e32 v[26:27], 3, v[26:27]
	s_wait_alu 0xfffe
	v_mul_f64_e32 v[10:11], s[2:3], v[28:29]
	v_mul_f64_e32 v[28:29], s[2:3], v[30:31]
	s_wait_dscnt 0x2
	v_mul_f32_e32 v51, v116, v2
	v_mul_f64_e32 v[30:31], s[2:3], v[32:33]
	s_wait_dscnt 0x1
	v_dual_mul_f32 v46, v114, v1 :: v_dual_mul_f32 v49, v124, v16
	v_mul_f32_e32 v47, v114, v0
	v_cvt_f64_f32_e32 v[8:9], v38
	v_cvt_f64_f32_e32 v[14:15], v42
	s_delay_alu instid0(VALU_DEP_4)
	v_fmac_f32_e32 v46, v113, v0
	v_dual_mul_f32 v48, v124, v17 :: v_dual_mul_f32 v53, v122, v18
	v_fma_f32 v42, v113, v1, -v47
	v_cvt_f64_f32_e32 v[0:1], v55
	v_fma_f32 v47, v123, v17, -v49
	v_mul_f64_e32 v[6:7], s[2:3], v[6:7]
	v_add_co_u32 v49, s0, s8, v24
	v_mul_f64_e32 v[32:33], s[2:3], v[34:35]
	v_mul_f64_e32 v[34:35], s[2:3], v[36:37]
	v_cvt_f64_f32_e32 v[36:37], v41
	v_cvt_f64_f32_e32 v[38:39], v43
	v_fmac_f32_e32 v48, v123, v16
	s_wait_alu 0xf1ff
	v_add_co_ci_u32_e64 v56, s0, s9, v25, s0
	v_cvt_f64_f32_e32 v[16:17], v44
	v_cvt_f64_f32_e32 v[24:25], v40
	v_mul_f32_e32 v50, v116, v3
	s_wait_dscnt 0x0
	v_mul_f32_e32 v54, v118, v21
	v_mul_f32_e32 v52, v122, v19
	v_add_co_u32 v26, s0, v49, v26
	v_mul_f32_e32 v49, v132, v4
	s_delay_alu instid0(VALU_DEP_4)
	v_fmac_f32_e32 v54, v117, v20
	v_mul_f32_e32 v20, v118, v20
	v_cvt_f64_f32_e32 v[40:41], v46
	v_cvt_f64_f32_e32 v[42:43], v42
	;; [unrolled: 1-line block ×3, first 2 shown]
	v_cvt_f32_f64_e32 v10, v[10:11]
	v_cvt_f64_f32_e32 v[46:47], v47
	v_mul_f32_e32 v48, v132, v5
	v_fmac_f32_e32 v52, v121, v18
	v_fma_f32 v20, v117, v21, -v20
	v_fma_f32 v49, v131, v5, -v49
	v_mul_f64_e32 v[12:13], s[2:3], v[12:13]
	v_fmac_f32_e32 v48, v131, v4
	v_mul_f64_e32 v[8:9], s[2:3], v[8:9]
	v_cvt_f64_f32_e32 v[4:5], v20
	s_mul_u64 s[6:7], s[4:5], 0x1a4
	v_add_co_ci_u32_e64 v27, s0, v56, v27, s0
	v_cvt_f64_f32_e32 v[20:21], v48
	v_mul_f64_e32 v[0:1], s[2:3], v[0:1]
	v_cvt_f32_f64_e32 v11, v[6:7]
	v_cvt_f32_f64_e32 v7, v[30:31]
	v_fma_f32 v30, v115, v3, -v51
	v_mul_f32_e32 v51, v134, v22
	v_fmac_f32_e32 v50, v115, v2
	v_cvt_f32_f64_e32 v6, v[28:29]
	v_cvt_f32_f64_e32 v28, v[32:33]
	;; [unrolled: 1-line block ×3, first 2 shown]
	v_fma_f32 v32, v121, v19, -v53
	v_cvt_f64_f32_e32 v[2:3], v50
	v_mul_f32_e32 v50, v134, v23
	v_fma_f32 v51, v133, v23, -v51
	v_cvt_f64_f32_e32 v[18:19], v30
	v_cvt_f64_f32_e32 v[30:31], v52
	;; [unrolled: 1-line block ×3, first 2 shown]
	v_fmac_f32_e32 v50, v133, v22
	v_cvt_f64_f32_e32 v[22:23], v49
	v_cvt_f64_f32_e32 v[34:35], v54
	v_mul_f64_e32 v[36:37], s[2:3], v[36:37]
	s_movk_i32 s0, 0xfe94
	v_cvt_f64_f32_e32 v[48:49], v50
	v_cvt_f64_f32_e32 v[50:51], v51
	s_mov_b32 s1, -1
	s_wait_alu 0xfffe
	s_lshl_b64 s[6:7], s[6:7], 3
	s_mul_u64 s[4:5], s[4:5], s[0:1]
	s_wait_alu 0xfffe
	v_add_co_u32 v52, s0, v26, s6
	v_mul_f64_e32 v[16:17], s[2:3], v[16:17]
	v_mul_f64_e32 v[24:25], s[2:3], v[24:25]
	;; [unrolled: 1-line block ×4, first 2 shown]
	s_wait_alu 0xf1ff
	v_add_co_ci_u32_e64 v53, s0, s7, v27, s0
	s_lshl_b64 s[4:5], s[4:5], 3
	v_mul_f64_e32 v[40:41], s[2:3], v[40:41]
	s_wait_alu 0xfffe
	v_add_co_u32 v54, s0, v52, s4
	s_wait_alu 0xf1ff
	v_add_co_ci_u32_e64 v55, s0, s5, v53, s0
	v_mul_f64_e32 v[42:43], s[2:3], v[42:43]
	s_clause 0x2
	global_store_b64 v[26:27], v[10:11], off
	global_store_b64 v[52:53], v[28:29], off
	;; [unrolled: 1-line block ×3, first 2 shown]
	v_mul_f64_e32 v[6:7], s[2:3], v[44:45]
	v_mul_f64_e32 v[10:11], s[2:3], v[46:47]
	;; [unrolled: 1-line block ×8, first 2 shown]
	v_cvt_f32_f64_e32 v8, v[8:9]
	v_mul_f64_e32 v[22:23], s[2:3], v[22:23]
	v_mul_f64_e32 v[30:31], s[2:3], v[34:35]
	v_cvt_f32_f64_e32 v9, v[0:1]
	v_cvt_f32_f64_e32 v12, v[12:13]
	v_mul_f64_e32 v[32:33], s[2:3], v[48:49]
	v_mul_f64_e32 v[34:35], s[2:3], v[50:51]
	v_cvt_f32_f64_e32 v13, v[36:37]
	v_add_co_u32 v0, s0, v54, s6
	s_wait_alu 0xf1ff
	v_add_co_ci_u32_e64 v1, s0, s7, v55, s0
	v_cvt_f32_f64_e32 v16, v[16:17]
	v_cvt_f32_f64_e32 v17, v[24:25]
	;; [unrolled: 1-line block ×4, first 2 shown]
	v_add_co_u32 v36, s0, v0, s4
	s_wait_alu 0xf1ff
	v_add_co_ci_u32_e64 v37, s0, s5, v1, s0
	v_cvt_f32_f64_e32 v38, v[40:41]
	s_delay_alu instid0(VALU_DEP_3) | instskip(SKIP_1) | instid1(VALU_DEP_3)
	v_add_co_u32 v24, s0, v36, s6
	s_wait_alu 0xf1ff
	v_add_co_ci_u32_e64 v25, s0, s7, v37, s0
	v_cvt_f32_f64_e32 v39, v[42:43]
	s_delay_alu instid0(VALU_DEP_3) | instskip(SKIP_1) | instid1(VALU_DEP_3)
	v_add_co_u32 v40, s0, v24, s4
	s_wait_alu 0xf1ff
	v_add_co_ci_u32_e64 v41, s0, s5, v25, s0
	v_cvt_f32_f64_e32 v6, v[6:7]
	v_cvt_f32_f64_e32 v7, v[10:11]
	;; [unrolled: 1-line block ×8, first 2 shown]
	v_add_co_u32 v22, s0, v40, s6
	v_cvt_f32_f64_e32 v18, v[30:31]
	v_cvt_f32_f64_e32 v4, v[20:21]
	s_wait_alu 0xf1ff
	v_add_co_ci_u32_e64 v23, s0, s7, v41, s0
	v_cvt_f32_f64_e32 v20, v[32:33]
	v_cvt_f32_f64_e32 v21, v[34:35]
	global_store_b64 v[0:1], v[8:9], off
	v_add_co_u32 v0, s0, v22, s4
	s_wait_alu 0xf1ff
	v_add_co_ci_u32_e64 v1, s0, s5, v23, s0
	global_store_b64 v[36:37], v[12:13], off
	v_add_co_u32 v8, s0, v0, s6
	s_wait_alu 0xf1ff
	v_add_co_ci_u32_e64 v9, s0, s7, v1, s0
	;; [unrolled: 4-line block ×6, first 2 shown]
	global_store_b64 v[8:9], v[2:3], off
	global_store_b64 v[12:13], v[10:11], off
	;; [unrolled: 1-line block ×5, first 2 shown]
	s_and_b32 exec_lo, exec_lo, vcc_lo
	s_cbranch_execz .LBB0_39
; %bb.38:
	global_load_b64 v[2:3], v[104:105], off offset:3136
	ds_load_b64 v[4:5], v141 offset:3136
	ds_load_b64 v[6:7], v141 offset:6496
	v_add_co_u32 v0, vcc_lo, v0, s4
	s_wait_alu 0xfffd
	v_add_co_ci_u32_e32 v1, vcc_lo, s5, v1, vcc_lo
	s_wait_loadcnt_dscnt 0x1
	v_mul_f32_e32 v8, v5, v3
	v_mul_f32_e32 v3, v4, v3
	s_delay_alu instid0(VALU_DEP_2) | instskip(NEXT) | instid1(VALU_DEP_2)
	v_fmac_f32_e32 v8, v4, v2
	v_fma_f32 v4, v2, v5, -v3
	s_delay_alu instid0(VALU_DEP_2) | instskip(NEXT) | instid1(VALU_DEP_2)
	v_cvt_f64_f32_e32 v[2:3], v8
	v_cvt_f64_f32_e32 v[4:5], v4
	s_delay_alu instid0(VALU_DEP_2) | instskip(NEXT) | instid1(VALU_DEP_2)
	v_mul_f64_e32 v[2:3], s[2:3], v[2:3]
	v_mul_f64_e32 v[4:5], s[2:3], v[4:5]
	s_delay_alu instid0(VALU_DEP_2) | instskip(NEXT) | instid1(VALU_DEP_2)
	v_cvt_f32_f64_e32 v2, v[2:3]
	v_cvt_f32_f64_e32 v3, v[4:5]
	global_store_b64 v[0:1], v[2:3], off
	global_load_b64 v[2:3], v[104:105], off offset:6496
	v_add_co_u32 v0, vcc_lo, v0, s6
	s_wait_alu 0xfffd
	v_add_co_ci_u32_e32 v1, vcc_lo, s7, v1, vcc_lo
	s_wait_loadcnt_dscnt 0x0
	v_mul_f32_e32 v4, v7, v3
	v_mul_f32_e32 v3, v6, v3
	s_delay_alu instid0(VALU_DEP_2) | instskip(NEXT) | instid1(VALU_DEP_2)
	v_fmac_f32_e32 v4, v6, v2
	v_fma_f32 v5, v2, v7, -v3
	s_delay_alu instid0(VALU_DEP_2) | instskip(NEXT) | instid1(VALU_DEP_2)
	v_cvt_f64_f32_e32 v[2:3], v4
	v_cvt_f64_f32_e32 v[4:5], v5
	s_delay_alu instid0(VALU_DEP_2) | instskip(NEXT) | instid1(VALU_DEP_2)
	v_mul_f64_e32 v[2:3], s[2:3], v[2:3]
	v_mul_f64_e32 v[4:5], s[2:3], v[4:5]
	s_delay_alu instid0(VALU_DEP_2) | instskip(NEXT) | instid1(VALU_DEP_2)
	v_cvt_f32_f64_e32 v2, v[2:3]
	v_cvt_f32_f64_e32 v3, v[4:5]
	global_store_b64 v[0:1], v[2:3], off
.LBB0_39:
	s_nop 0
	s_sendmsg sendmsg(MSG_DEALLOC_VGPRS)
	s_endpgm
	.section	.rodata,"a",@progbits
	.p2align	6, 0x0
	.amdhsa_kernel bluestein_single_back_len840_dim1_sp_op_CI_CI
		.amdhsa_group_segment_fixed_size 6720
		.amdhsa_private_segment_fixed_size 0
		.amdhsa_kernarg_size 104
		.amdhsa_user_sgpr_count 2
		.amdhsa_user_sgpr_dispatch_ptr 0
		.amdhsa_user_sgpr_queue_ptr 0
		.amdhsa_user_sgpr_kernarg_segment_ptr 1
		.amdhsa_user_sgpr_dispatch_id 0
		.amdhsa_user_sgpr_private_segment_size 0
		.amdhsa_wavefront_size32 1
		.amdhsa_uses_dynamic_stack 0
		.amdhsa_enable_private_segment 0
		.amdhsa_system_sgpr_workgroup_id_x 1
		.amdhsa_system_sgpr_workgroup_id_y 0
		.amdhsa_system_sgpr_workgroup_id_z 0
		.amdhsa_system_sgpr_workgroup_info 0
		.amdhsa_system_vgpr_workitem_id 0
		.amdhsa_next_free_vgpr 215
		.amdhsa_next_free_sgpr 18
		.amdhsa_reserve_vcc 1
		.amdhsa_float_round_mode_32 0
		.amdhsa_float_round_mode_16_64 0
		.amdhsa_float_denorm_mode_32 3
		.amdhsa_float_denorm_mode_16_64 3
		.amdhsa_fp16_overflow 0
		.amdhsa_workgroup_processor_mode 1
		.amdhsa_memory_ordered 1
		.amdhsa_forward_progress 0
		.amdhsa_round_robin_scheduling 0
		.amdhsa_exception_fp_ieee_invalid_op 0
		.amdhsa_exception_fp_denorm_src 0
		.amdhsa_exception_fp_ieee_div_zero 0
		.amdhsa_exception_fp_ieee_overflow 0
		.amdhsa_exception_fp_ieee_underflow 0
		.amdhsa_exception_fp_ieee_inexact 0
		.amdhsa_exception_int_div_zero 0
	.end_amdhsa_kernel
	.text
.Lfunc_end0:
	.size	bluestein_single_back_len840_dim1_sp_op_CI_CI, .Lfunc_end0-bluestein_single_back_len840_dim1_sp_op_CI_CI
                                        ; -- End function
	.section	.AMDGPU.csdata,"",@progbits
; Kernel info:
; codeLenInByte = 17556
; NumSgprs: 20
; NumVgprs: 215
; ScratchSize: 0
; MemoryBound: 0
; FloatMode: 240
; IeeeMode: 1
; LDSByteSize: 6720 bytes/workgroup (compile time only)
; SGPRBlocks: 2
; VGPRBlocks: 26
; NumSGPRsForWavesPerEU: 20
; NumVGPRsForWavesPerEU: 215
; Occupancy: 7
; WaveLimiterHint : 1
; COMPUTE_PGM_RSRC2:SCRATCH_EN: 0
; COMPUTE_PGM_RSRC2:USER_SGPR: 2
; COMPUTE_PGM_RSRC2:TRAP_HANDLER: 0
; COMPUTE_PGM_RSRC2:TGID_X_EN: 1
; COMPUTE_PGM_RSRC2:TGID_Y_EN: 0
; COMPUTE_PGM_RSRC2:TGID_Z_EN: 0
; COMPUTE_PGM_RSRC2:TIDIG_COMP_CNT: 0
	.text
	.p2alignl 7, 3214868480
	.fill 96, 4, 3214868480
	.type	__hip_cuid_573297306061a1,@object ; @__hip_cuid_573297306061a1
	.section	.bss,"aw",@nobits
	.globl	__hip_cuid_573297306061a1
__hip_cuid_573297306061a1:
	.byte	0                               ; 0x0
	.size	__hip_cuid_573297306061a1, 1

	.ident	"AMD clang version 19.0.0git (https://github.com/RadeonOpenCompute/llvm-project roc-6.4.0 25133 c7fe45cf4b819c5991fe208aaa96edf142730f1d)"
	.section	".note.GNU-stack","",@progbits
	.addrsig
	.addrsig_sym __hip_cuid_573297306061a1
	.amdgpu_metadata
---
amdhsa.kernels:
  - .args:
      - .actual_access:  read_only
        .address_space:  global
        .offset:         0
        .size:           8
        .value_kind:     global_buffer
      - .actual_access:  read_only
        .address_space:  global
        .offset:         8
        .size:           8
        .value_kind:     global_buffer
      - .actual_access:  read_only
        .address_space:  global
        .offset:         16
        .size:           8
        .value_kind:     global_buffer
      - .actual_access:  read_only
        .address_space:  global
        .offset:         24
        .size:           8
        .value_kind:     global_buffer
      - .actual_access:  read_only
        .address_space:  global
        .offset:         32
        .size:           8
        .value_kind:     global_buffer
      - .offset:         40
        .size:           8
        .value_kind:     by_value
      - .address_space:  global
        .offset:         48
        .size:           8
        .value_kind:     global_buffer
      - .address_space:  global
        .offset:         56
        .size:           8
        .value_kind:     global_buffer
      - .address_space:  global
        .offset:         64
        .size:           8
        .value_kind:     global_buffer
      - .address_space:  global
        .offset:         72
        .size:           8
        .value_kind:     global_buffer
      - .offset:         80
        .size:           4
        .value_kind:     by_value
      - .address_space:  global
        .offset:         88
        .size:           8
        .value_kind:     global_buffer
      - .address_space:  global
        .offset:         96
        .size:           8
        .value_kind:     global_buffer
    .group_segment_fixed_size: 6720
    .kernarg_segment_align: 8
    .kernarg_segment_size: 104
    .language:       OpenCL C
    .language_version:
      - 2
      - 0
    .max_flat_workgroup_size: 56
    .name:           bluestein_single_back_len840_dim1_sp_op_CI_CI
    .private_segment_fixed_size: 0
    .sgpr_count:     20
    .sgpr_spill_count: 0
    .symbol:         bluestein_single_back_len840_dim1_sp_op_CI_CI.kd
    .uniform_work_group_size: 1
    .uses_dynamic_stack: false
    .vgpr_count:     215
    .vgpr_spill_count: 0
    .wavefront_size: 32
    .workgroup_processor_mode: 1
amdhsa.target:   amdgcn-amd-amdhsa--gfx1201
amdhsa.version:
  - 1
  - 2
...

	.end_amdgpu_metadata
